;; amdgpu-corpus repo=ROCm/rocFFT kind=compiled arch=gfx950 opt=O3
	.text
	.amdgcn_target "amdgcn-amd-amdhsa--gfx950"
	.amdhsa_code_object_version 6
	.protected	bluestein_single_fwd_len1701_dim1_sp_op_CI_CI ; -- Begin function bluestein_single_fwd_len1701_dim1_sp_op_CI_CI
	.globl	bluestein_single_fwd_len1701_dim1_sp_op_CI_CI
	.p2align	8
	.type	bluestein_single_fwd_len1701_dim1_sp_op_CI_CI,@function
bluestein_single_fwd_len1701_dim1_sp_op_CI_CI: ; @bluestein_single_fwd_len1701_dim1_sp_op_CI_CI
; %bb.0:
	s_load_dwordx4 s[12:15], s[0:1], 0x28
	v_mul_u32_u24_e32 v1, 0x411, v0
	v_add_u32_sdwa v214, s2, v1 dst_sel:DWORD dst_unused:UNUSED_PAD src0_sel:DWORD src1_sel:WORD_1
	v_mov_b32_e32 v215, 0
	s_waitcnt lgkmcnt(0)
	v_cmp_gt_u64_e32 vcc, s[12:13], v[214:215]
	s_and_saveexec_b64 s[2:3], vcc
	s_cbranch_execz .LBB0_12
; %bb.1:
	s_load_dwordx4 s[4:7], s[0:1], 0x18
	s_load_dwordx4 s[8:11], s[0:1], 0x0
	v_mov_b32_e32 v2, s14
	v_mov_b32_e32 v3, s15
	;; [unrolled: 1-line block ×3, first 2 shown]
	s_waitcnt lgkmcnt(0)
	s_load_dwordx4 s[12:15], s[4:5], 0x0
	v_mul_lo_u16_sdwa v1, v1, v4 dst_sel:DWORD dst_unused:UNUSED_PAD src0_sel:WORD_1 src1_sel:DWORD
	v_sub_u16_e32 v252, v0, v1
	v_mov_b32_e32 v28, 0x11b8
	v_lshlrev_b32_e32 v228, 3, v252
	s_waitcnt lgkmcnt(0)
	v_mad_u64_u32 v[0:1], s[2:3], s14, v214, 0
	v_mov_b32_e32 v4, v1
	v_mad_u64_u32 v[4:5], s[2:3], s15, v214, v[4:5]
	v_mov_b32_e32 v1, v4
	v_mad_u64_u32 v[4:5], s[2:3], s12, v252, 0
	v_mov_b32_e32 v6, v5
	v_mad_u64_u32 v[6:7], s[2:3], s13, v252, v[6:7]
	v_mov_b32_e32 v5, v6
	v_lshl_add_u64 v[0:1], v[0:1], 3, v[2:3]
	v_lshl_add_u64 v[2:3], v[4:5], 3, v[0:1]
	v_mov_b32_e32 v229, v215
	v_mad_u64_u32 v[4:5], s[2:3], s12, v28, v[2:3]
	v_lshl_add_u64 v[0:1], s[8:9], 0, v[228:229]
	s_mul_i32 s2, s13, 0x11b8
	s_movk_i32 s3, 0x1000
	global_load_dwordx2 v[30:31], v[2:3], off
	v_add_u32_e32 v5, s2, v5
	v_add_co_u32_e32 v2, vcc, s3, v0
	v_mad_u64_u32 v[8:9], s[4:5], s12, v28, v[4:5]
	s_nop 0
	v_addc_co_u32_e32 v3, vcc, 0, v1, vcc
	s_movk_i32 s3, 0x2000
	global_load_dwordx2 v[58:59], v228, s[8:9]
	global_load_dwordx2 v[40:41], v[2:3], off offset:440
	v_add_u32_e32 v9, s2, v9
	global_load_dwordx2 v[32:33], v[4:5], off
	global_load_dwordx2 v[6:7], v[8:9], off
	v_add_co_u32_e32 v4, vcc, s3, v0
	v_mov_b32_e32 v29, 0xffffde88
	s_mul_i32 s3, s13, 0xffffde88
	v_mad_u64_u32 v[10:11], s[4:5], s12, v29, v[8:9]
	s_sub_i32 s3, s3, s12
	v_add_u32_e32 v11, s3, v11
	v_mad_u64_u32 v[12:13], s[4:5], s12, v28, v[10:11]
	v_add_u32_e32 v13, s2, v13
	v_mad_u64_u32 v[14:15], s[4:5], s12, v28, v[12:13]
	v_addc_co_u32_e32 v5, vcc, 0, v1, vcc
	v_add_u32_e32 v15, s2, v15
	global_load_dwordx2 v[54:55], v[4:5], off offset:880
	v_mad_u64_u32 v[16:17], s[4:5], s12, v29, v[14:15]
	v_add_u32_e32 v17, s3, v17
	global_load_dwordx2 v[56:57], v228, s[8:9] offset:504
	global_load_dwordx2 v[8:9], v[10:11], off
	v_mad_u64_u32 v[18:19], s[4:5], s12, v28, v[16:17]
	global_load_dwordx2 v[10:11], v[12:13], off
	global_load_dwordx2 v[52:53], v[2:3], off offset:944
	s_nop 0
	global_load_dwordx2 v[12:13], v[14:15], off
	global_load_dwordx2 v[50:51], v[4:5], off offset:1384
	v_add_u32_e32 v19, s2, v19
	global_load_dwordx2 v[14:15], v[16:17], off
	global_load_dwordx2 v[48:49], v228, s[8:9] offset:1008
	s_nop 0
	global_load_dwordx2 v[16:17], v[18:19], off
	global_load_dwordx2 v[46:47], v[2:3], off offset:1448
	v_mad_u64_u32 v[20:21], s[4:5], s12, v28, v[18:19]
	v_add_u32_e32 v21, s2, v21
	global_load_dwordx2 v[18:19], v[20:21], off
	global_load_dwordx2 v[44:45], v[4:5], off offset:1888
	v_mad_u64_u32 v[22:23], s[4:5], s12, v29, v[20:21]
	v_add_u32_e32 v23, s3, v23
	global_load_dwordx2 v[20:21], v[22:23], off
	global_load_dwordx2 v[42:43], v228, s[8:9] offset:1512
	v_mad_u64_u32 v[22:23], s[4:5], s12, v28, v[22:23]
	v_add_u32_e32 v23, s2, v23
	v_mad_u64_u32 v[26:27], s[4:5], s12, v28, v[22:23]
	v_add_u32_e32 v27, s2, v27
	global_load_dwordx2 v[24:25], v[22:23], off
	global_load_dwordx2 v[38:39], v[2:3], off offset:1952
	s_nop 0
	global_load_dwordx2 v[22:23], v[26:27], off
	global_load_dwordx2 v[36:37], v[4:5], off offset:2392
	v_add_u32_e32 v146, 0x1000, v228
	s_mov_b32 s13, 0
	v_mov_b32_e32 v253, s13
	s_mov_b64 s[14:15], 0x7e
	v_add_u32_e32 v147, 0x2000, v228
	v_lshl_add_u64 v[108:109], v[252:253], 0, s[14:15]
	s_load_dwordx4 s[4:7], s[6:7], 0x0
	s_movk_i32 s13, 0x3000
	v_add_co_u32_e32 v0, vcc, s13, v0
	v_add_u32_e32 v109, 0x1400, v228
	s_nop 0
	v_addc_co_u32_e32 v1, vcc, 0, v1, vcc
	v_add_u32_e32 v148, 0x2800, v228
	v_add_u32_e32 v154, 0x400, v228
	;; [unrolled: 1-line block ×5, first 2 shown]
	v_lshl_add_u64 v[110:111], v[252:253], 0, 63
	v_add_u32_e32 v152, 0x2400, v228
	v_add_u32_e32 v155, 0x2c00, v228
	;; [unrolled: 1-line block ×3, first 2 shown]
	v_cmp_gt_u16_e32 vcc, 18, v252
	v_accvgpr_write_b32 a18, v214
	s_waitcnt vmcnt(22)
	v_mul_f32_e32 v34, v31, v59
	v_fmac_f32_e32 v34, v30, v58
	v_mul_f32_e32 v30, v30, v59
	v_fma_f32 v35, v31, v58, -v30
	s_waitcnt vmcnt(20)
	v_mul_f32_e32 v30, v33, v41
	v_mul_f32_e32 v31, v32, v41
	v_fmac_f32_e32 v30, v32, v40
	v_fma_f32 v31, v33, v40, -v31
	ds_write_b64 v228, v[30:31] offset:4536
	v_accvgpr_write_b32 a28, v40
	v_accvgpr_write_b32 a29, v41
	global_load_dwordx2 v[40:41], v[4:5], off offset:376
	v_accvgpr_write_b32 a32, v58
	v_accvgpr_write_b32 a33, v59
	s_waitcnt vmcnt(19)
	v_mul_f32_e32 v30, v7, v55
	v_fmac_f32_e32 v30, v6, v54
	v_mul_f32_e32 v6, v6, v55
	v_fma_f32 v31, v7, v54, -v6
	s_waitcnt vmcnt(17)
	v_mul_f32_e32 v6, v9, v57
	v_mul_f32_e32 v7, v8, v57
	v_fmac_f32_e32 v6, v8, v56
	v_fma_f32 v7, v9, v56, -v7
	s_waitcnt vmcnt(13)
	v_mul_f32_e32 v8, v13, v51
	v_mul_f32_e32 v9, v12, v51
	ds_write_b64 v228, v[30:31] offset:9072
	ds_write2_b64 v228, v[34:35], v[6:7] offset1:63
	v_mul_f32_e32 v6, v11, v53
	v_mul_f32_e32 v7, v10, v53
	v_fmac_f32_e32 v8, v12, v50
	v_fma_f32 v9, v13, v50, -v9
	s_waitcnt vmcnt(9)
	v_mul_f32_e32 v12, v17, v47
	v_mul_f32_e32 v13, v16, v47
	v_fmac_f32_e32 v6, v10, v52
	v_fma_f32 v7, v11, v52, -v7
	v_fmac_f32_e32 v12, v16, v46
	v_fma_f32 v13, v17, v46, -v13
	ds_write2_b64 v146, v[6:7], v[12:13] offset0:118 offset1:181
	s_waitcnt vmcnt(7)
	v_mul_f32_e32 v6, v19, v45
	v_mul_f32_e32 v7, v18, v45
	v_fmac_f32_e32 v6, v18, v44
	v_fma_f32 v7, v19, v44, -v7
	ds_write2_b64 v147, v[8:9], v[6:7] offset0:173 offset1:236
	v_mad_u64_u32 v[6:7], s[14:15], s12, v29, v[26:27]
	v_mul_f32_e32 v10, v15, v49
	v_mul_f32_e32 v11, v14, v49
	v_add_u32_e32 v7, s3, v7
	s_mov_b64 s[14:15], 0xbd
	s_waitcnt vmcnt(5)
	v_mul_f32_e32 v12, v21, v43
	v_mul_f32_e32 v13, v20, v43
	v_fmac_f32_e32 v10, v14, v48
	v_fma_f32 v11, v15, v48, -v11
	global_load_dwordx2 v[8:9], v[6:7], off
	global_load_dwordx2 v[68:69], v228, s[8:9] offset:2016
	v_lshl_add_u64 v[160:161], v[252:253], 0, s[14:15]
	v_fmac_f32_e32 v12, v20, v42
	v_fma_f32 v13, v21, v42, -v13
	v_mad_u64_u32 v[6:7], s[14:15], s12, v28, v[6:7]
	ds_write2_b64 v228, v[10:11], v[12:13] offset0:126 offset1:189
	v_add_u32_e32 v7, s2, v7
	global_load_dwordx2 v[12:13], v[6:7], off
	global_load_dwordx2 v[66:67], v[2:3], off offset:2456
	v_mad_u64_u32 v[6:7], s[14:15], s12, v28, v[6:7]
	v_accvgpr_write_b32 a16, v50
	v_add_u32_e32 v7, s2, v7
	v_accvgpr_write_b32 a17, v51
	global_load_dwordx2 v[14:15], v[6:7], off
	global_load_dwordx2 v[64:65], v[4:5], off offset:2896
	global_load_dwordx2 v[58:59], v[4:5], off offset:3400
	global_load_dwordx2 v[50:51], v[4:5], off offset:3904
	v_mad_u64_u32 v[6:7], s[14:15], s12, v29, v[6:7]
	v_add_u32_e32 v7, s3, v7
	global_load_dwordx2 v[16:17], v[6:7], off
	global_load_dwordx2 v[62:63], v228, s[8:9] offset:2520
	v_mad_u64_u32 v[6:7], s[14:15], s12, v28, v[6:7]
	v_add_u32_e32 v7, s2, v7
	global_load_dwordx2 v[18:19], v[6:7], off
	global_load_dwordx2 v[60:61], v[2:3], off offset:2960
	v_mad_u64_u32 v[6:7], s[14:15], s12, v28, v[6:7]
	v_add_u32_e32 v7, s2, v7
	global_load_dwordx2 v[20:21], v[6:7], off
	v_mad_u64_u32 v[6:7], s[16:17], s12, v29, v[6:7]
	v_accvgpr_write_b32 a26, v56
	s_waitcnt vmcnt(14)
	v_mul_f32_e32 v4, v23, v37
	v_mul_f32_e32 v5, v22, v37
	v_add_u32_e32 v7, s3, v7
	v_accvgpr_write_b32 a27, v57
	v_fmac_f32_e32 v4, v22, v36
	v_fma_f32 v5, v23, v36, -v5
	global_load_dwordx2 v[22:23], v[6:7], off
	global_load_dwordx2 v[56:57], v228, s[8:9] offset:3024
	v_mad_u64_u32 v[6:7], s[16:17], s12, v28, v[6:7]
	v_accvgpr_write_b32 a24, v54
	v_mul_f32_e32 v10, v25, v39
	v_mul_f32_e32 v11, v24, v39
	v_add_u32_e32 v7, s2, v7
	v_accvgpr_write_b32 a25, v55
	v_fmac_f32_e32 v10, v24, v38
	v_fma_f32 v11, v25, v38, -v11
	global_load_dwordx2 v[24:25], v[6:7], off
	global_load_dwordx2 v[54:55], v[2:3], off offset:3464
	v_mad_u64_u32 v[6:7], s[16:17], s12, v28, v[6:7]
	v_add_u32_e32 v7, s2, v7
	global_load_dwordx2 v[26:27], v[6:7], off
	v_mad_u64_u32 v[6:7], s[16:17], s12, v29, v[6:7]
	v_accvgpr_write_b32 a20, v52
	v_add_u32_e32 v7, s3, v7
	v_accvgpr_write_b32 a21, v53
	global_load_dwordx2 v[30:31], v[6:7], off
	global_load_dwordx2 v[52:53], v228, s[8:9] offset:3528
	v_mad_u64_u32 v[6:7], s[16:17], s12, v28, v[6:7]
	v_accvgpr_write_b32 a12, v48
	v_add_u32_e32 v7, s2, v7
	v_accvgpr_write_b32 a13, v49
	global_load_dwordx2 v[32:33], v[6:7], off
	global_load_dwordx2 v[48:49], v[2:3], off offset:3968
	v_mad_u64_u32 v[2:3], s[16:17], s12, v28, v[6:7]
	s_mov_b64 s[14:15], 0xfc
	v_add_u32_e32 v3, s2, v3
	global_load_dwordx2 v[6:7], v[2:3], off
	v_lshl_add_u64 v[112:113], v[252:253], 0, s[14:15]
	v_mad_u64_u32 v[2:3], s[14:15], s12, v29, v[2:3]
	v_accvgpr_write_b32 a10, v46
	v_accvgpr_write_b32 a8, v44
	;; [unrolled: 1-line block ×3, first 2 shown]
	v_add_u32_e32 v3, s3, v3
	v_accvgpr_write_b32 a11, v47
	v_accvgpr_write_b32 a9, v45
	;; [unrolled: 1-line block ×3, first 2 shown]
	global_load_dwordx2 v[46:47], v[0:1], off offset:312
	global_load_dwordx2 v[36:37], v[2:3], off
	global_load_dwordx2 v[44:45], v228, s[8:9] offset:4032
	v_mad_u64_u32 v[2:3], s[14:15], s12, v28, v[2:3]
	v_accvgpr_write_b32 a4, v38
	v_add_u32_e32 v3, s2, v3
	v_accvgpr_write_b32 a5, v39
	global_load_dwordx2 v[38:39], v[2:3], off
	v_mad_u64_u32 v[2:3], s[12:13], s12, v28, v[2:3]
	v_accvgpr_write_b32 a6, v42
	v_add_u32_e32 v3, s2, v3
	v_accvgpr_write_b32 a7, v43
	global_load_dwordx2 v[28:29], v[2:3], off
	global_load_dwordx2 v[42:43], v[0:1], off offset:816
	s_waitcnt vmcnt(25)
	v_mul_f32_e32 v0, v13, v67
	v_mul_f32_e32 v1, v12, v67
	v_fmac_f32_e32 v0, v12, v66
	v_fma_f32 v1, v13, v66, -v1
	ds_write2_b64 v109, v[10:11], v[0:1] offset0:116 offset1:179
	s_waitcnt vmcnt(23)
	v_mul_f32_e32 v0, v15, v65
	v_mul_f32_e32 v1, v14, v65
	;; [unrolled: 1-line block ×3, first 2 shown]
	v_fmac_f32_e32 v0, v14, v64
	v_fma_f32 v1, v15, v64, -v1
	v_fmac_f32_e32 v34, v8, v68
	v_mul_f32_e32 v8, v8, v69
	ds_write2_b64 v148, v[4:5], v[0:1] offset0:43 offset1:106
	s_waitcnt vmcnt(19)
	v_mul_f32_e32 v0, v17, v63
	v_mul_f32_e32 v1, v16, v63
	v_fma_f32 v35, v9, v68, -v8
	v_fmac_f32_e32 v0, v16, v62
	v_fma_f32 v1, v17, v62, -v1
	ds_write2_b64 v154, v[34:35], v[0:1] offset0:124 offset1:187
	s_waitcnt vmcnt(17)
	v_mul_f32_e32 v0, v19, v61
	v_mul_f32_e32 v1, v18, v61
	v_fmac_f32_e32 v0, v18, v60
	v_fma_f32 v1, v19, v60, -v1
	s_waitcnt vmcnt(16)
	v_mul_f32_e32 v2, v21, v59
	v_mul_f32_e32 v3, v20, v59
	v_fmac_f32_e32 v2, v20, v58
	v_fma_f32 v3, v21, v58, -v3
	;; [unrolled: 5-line block ×3, first 2 shown]
	v_accvgpr_write_b32 a50, v64
	s_mov_b64 s[2:3], 0x13b
	v_mul_lo_u16_e32 v12, 3, v252
	s_waitcnt vmcnt(12)
	v_mul_f32_e32 v8, v25, v55
	v_mul_f32_e32 v9, v24, v55
	v_fmac_f32_e32 v8, v24, v54
	v_fma_f32 v9, v25, v54, -v9
	ds_write2_b64 v149, v[0:1], v[8:9] offset0:114 offset1:177
	s_waitcnt vmcnt(11)
	v_mul_f32_e32 v0, v27, v51
	v_mul_f32_e32 v1, v26, v51
	v_fmac_f32_e32 v0, v26, v50
	v_fma_f32 v1, v27, v50, -v1
	ds_write2_b64 v148, v[2:3], v[0:1] offset0:169 offset1:232
	s_waitcnt vmcnt(9)
	v_mul_f32_e32 v0, v31, v53
	v_mul_f32_e32 v1, v30, v53
	v_fmac_f32_e32 v0, v30, v52
	v_fma_f32 v1, v31, v52, -v1
	ds_write2_b64 v150, v[4:5], v[0:1] offset0:122 offset1:185
	v_accvgpr_write_b32 a51, v65
	s_waitcnt vmcnt(7)
	v_mul_f32_e32 v0, v33, v49
	v_mul_f32_e32 v1, v32, v49
	v_fmac_f32_e32 v0, v32, v48
	v_fma_f32 v1, v33, v48, -v1
	v_lshl_add_u64 v[114:115], v[252:253], 0, s[2:3]
	v_accvgpr_write_b32 a46, v60
	s_mov_b64 s[2:3], 0x17a
	v_lshlrev_b32_e32 v64, 3, v12
	v_mul_u32_u24_e32 v12, 3, v110
	v_accvgpr_write_b32 a47, v61
	v_lshl_add_u64 v[132:133], v[252:253], 0, s[2:3]
	s_mov_b64 s[2:3], 0x1b9
	v_lshlrev_b32_e32 v60, 3, v12
	v_lshl_add_u64 v[134:135], v[252:253], 0, s[2:3]
	s_mov_b64 s[2:3], 0x1f8
	v_lshl_add_u64 v[136:137], v[252:253], 0, s[2:3]
	s_waitcnt vmcnt(5)
	v_mul_f32_e32 v2, v7, v47
	s_waitcnt vmcnt(3)
	v_mul_f32_e32 v4, v37, v45
	v_mul_f32_e32 v5, v36, v45
	v_fmac_f32_e32 v4, v36, v44
	v_fma_f32 v5, v37, v44, -v5
	ds_write_b64 v228, v[4:5] offset:4032
	v_mul_f32_e32 v3, v6, v47
	s_waitcnt vmcnt(2)
	v_mul_f32_e32 v4, v39, v41
	v_mul_f32_e32 v5, v38, v41
	v_fmac_f32_e32 v4, v38, v40
	v_fma_f32 v5, v39, v40, -v5
	ds_write2_b64 v151, v[0:1], v[4:5] offset0:112 offset1:175
	v_fmac_f32_e32 v2, v6, v46
	s_waitcnt vmcnt(0)
	v_mul_f32_e32 v0, v29, v43
	v_mul_f32_e32 v1, v28, v43
	v_fma_f32 v3, v7, v46, -v3
	v_fmac_f32_e32 v0, v28, v42
	v_fma_f32 v1, v29, v42, -v1
	v_add_u32_e32 v4, 0x3000, v228
	ds_write2_b64 v4, v[2:3], v[0:1] offset0:39 offset1:102
	s_waitcnt lgkmcnt(0)
	; wave barrier
	s_waitcnt lgkmcnt(0)
	ds_read2_b64 v[0:3], v228 offset1:63
	ds_read2_b64 v[4:7], v146 offset0:118 offset1:181
	ds_read2_b64 v[8:11], v147 offset0:110 offset1:173
	s_mov_b32 s2, 0x3f5db3d7
	v_accvgpr_write_b32 a48, v62
	v_accvgpr_write_b32 a49, v63
	s_waitcnt lgkmcnt(1)
	v_pk_add_f32 v[12:13], v[2:3], v[4:5]
	v_accvgpr_write_b32 a0, v40
	s_waitcnt lgkmcnt(0)
	v_pk_add_f32 v[18:19], v[12:13], v[10:11]
	v_pk_add_f32 v[12:13], v[4:5], v[10:11]
	v_accvgpr_write_b32 a1, v41
	v_pk_fma_f32 v[14:15], v[12:13], 0.5, v[2:3] op_sel_hi:[1,0,1] neg_lo:[1,0,0] neg_hi:[1,0,0]
	v_pk_add_f32 v[2:3], v[4:5], v[10:11] neg_lo:[0,1] neg_hi:[0,1]
	ds_read2_b64 v[10:13], v152 offset0:108 offset1:171
	v_pk_mul_f32 v[16:17], v[2:3], s[2:3] op_sel_hi:[1,0]
	ds_read2_b64 v[2:5], v228 offset0:126 offset1:189
	v_pk_add_f32 v[20:21], v[14:15], v[16:17] op_sel:[0,1] op_sel_hi:[1,0]
	v_pk_add_f32 v[22:23], v[14:15], v[16:17] op_sel:[0,1] op_sel_hi:[1,0] neg_lo:[0,1] neg_hi:[0,1]
	v_mul_u32_u24_e32 v14, 3, v108
	v_lshlrev_b32_e32 v61, 3, v14
	s_waitcnt lgkmcnt(0)
	v_pk_add_f32 v[14:15], v[2:3], v[6:7]
	v_accvgpr_write_b32 a14, v42
	v_pk_add_f32 v[24:25], v[14:15], v[10:11]
	v_pk_add_f32 v[14:15], v[6:7], v[10:11]
	v_pk_add_f32 v[6:7], v[6:7], v[10:11] neg_lo:[0,1] neg_hi:[0,1]
	v_pk_fma_f32 v[2:3], v[14:15], 0.5, v[2:3] op_sel_hi:[1,0,1] neg_lo:[1,0,0] neg_hi:[1,0,0]
	ds_read2_b64 v[14:17], v109 offset0:116 offset1:179
	v_pk_mul_f32 v[6:7], v[6:7], s[2:3] op_sel_hi:[1,0]
	v_accvgpr_write_b32 a15, v43
	v_pk_add_f32 v[26:27], v[2:3], v[6:7] op_sel:[0,1] op_sel_hi:[1,0]
	v_pk_add_f32 v[6:7], v[2:3], v[6:7] op_sel:[0,1] op_sel_hi:[1,0] neg_lo:[0,1] neg_hi:[0,1]
	v_mul_u32_u24_e32 v2, 3, v160
	v_lshlrev_b32_e32 v62, 3, v2
	s_waitcnt lgkmcnt(0)
	v_pk_add_f32 v[2:3], v[4:5], v[14:15]
	v_accvgpr_write_b32 a22, v44
	v_pk_add_f32 v[28:29], v[2:3], v[12:13]
	v_pk_add_f32 v[2:3], v[14:15], v[12:13]
	v_accvgpr_write_b32 a52, v66
	v_pk_fma_f32 v[30:31], v[2:3], 0.5, v[4:5] op_sel_hi:[1,0,1] neg_lo:[1,0,0] neg_hi:[1,0,0]
	v_pk_add_f32 v[2:3], v[14:15], v[12:13] neg_lo:[0,1] neg_hi:[0,1]
	v_accvgpr_write_b32 a23, v45
	v_pk_mul_f32 v[14:15], v[2:3], s[2:3] op_sel_hi:[1,0]
	ds_read2_b64 v[2:5], v154 offset0:124 offset1:187
	ds_read2_b64 v[10:13], v148 offset0:106 offset1:169
	v_pk_add_f32 v[32:33], v[30:31], v[14:15] op_sel:[0,1] op_sel_hi:[1,0]
	v_pk_add_f32 v[30:31], v[30:31], v[14:15] op_sel:[0,1] op_sel_hi:[1,0] neg_lo:[0,1] neg_hi:[0,1]
	v_mul_u32_u24_e32 v14, 3, v112
	v_lshlrev_b32_e32 v63, 3, v14
	s_waitcnt lgkmcnt(1)
	v_pk_add_f32 v[14:15], v[2:3], v[16:17]
	v_accvgpr_write_b32 a53, v67
	s_waitcnt lgkmcnt(0)
	v_pk_add_f32 v[34:35], v[14:15], v[10:11]
	v_pk_add_f32 v[14:15], v[16:17], v[10:11]
	v_pk_add_f32 v[10:11], v[16:17], v[10:11] neg_lo:[0,1] neg_hi:[0,1]
	v_pk_fma_f32 v[2:3], v[14:15], 0.5, v[2:3] op_sel_hi:[1,0,1] neg_lo:[1,0,0] neg_hi:[1,0,0]
	ds_read2_b64 v[14:17], v149 offset0:114 offset1:177
	v_pk_mul_f32 v[10:11], v[10:11], s[2:3] op_sel_hi:[1,0]
	v_accvgpr_write_b32 a30, v46
	v_pk_add_f32 v[36:37], v[2:3], v[10:11] op_sel:[0,1] op_sel_hi:[1,0]
	v_pk_add_f32 v[38:39], v[2:3], v[10:11] op_sel:[0,1] op_sel_hi:[1,0] neg_lo:[0,1] neg_hi:[0,1]
	v_mul_u32_u24_e32 v2, 3, v114
	v_lshlrev_b32_e32 v65, 3, v2
	s_waitcnt lgkmcnt(0)
	v_pk_add_f32 v[2:3], v[4:5], v[14:15]
	v_accvgpr_write_b32 a31, v47
	v_pk_add_f32 v[40:41], v[2:3], v[12:13]
	v_pk_add_f32 v[2:3], v[14:15], v[12:13]
	v_accvgpr_write_b32 a34, v48
	v_pk_fma_f32 v[42:43], v[2:3], 0.5, v[4:5] op_sel_hi:[1,0,1] neg_lo:[1,0,0] neg_hi:[1,0,0]
	v_pk_add_f32 v[2:3], v[14:15], v[12:13] neg_lo:[0,1] neg_hi:[0,1]
	ds_read2_b64 v[10:13], v155 offset0:104 offset1:167
	v_pk_mul_f32 v[14:15], v[2:3], s[2:3] op_sel_hi:[1,0]
	ds_read2_b64 v[2:5], v150 offset0:122 offset1:185
	v_pk_add_f32 v[44:45], v[42:43], v[14:15] op_sel:[0,1] op_sel_hi:[1,0]
	v_pk_add_f32 v[42:43], v[42:43], v[14:15] op_sel:[0,1] op_sel_hi:[1,0] neg_lo:[0,1] neg_hi:[0,1]
	v_mul_u32_u24_e32 v14, 3, v132
	v_lshlrev_b32_e32 v66, 3, v14
	s_waitcnt lgkmcnt(0)
	v_pk_add_f32 v[14:15], v[2:3], v[16:17]
	v_accvgpr_write_b32 a35, v49
	v_pk_add_f32 v[46:47], v[14:15], v[10:11]
	v_pk_add_f32 v[14:15], v[16:17], v[10:11]
	v_pk_add_f32 v[10:11], v[16:17], v[10:11] neg_lo:[0,1] neg_hi:[0,1]
	v_pk_fma_f32 v[2:3], v[14:15], 0.5, v[2:3] op_sel_hi:[1,0,1] neg_lo:[1,0,0] neg_hi:[1,0,0]
	ds_read2_b64 v[14:17], v151 offset0:112 offset1:175
	v_pk_mul_f32 v[10:11], v[10:11], s[2:3] op_sel_hi:[1,0]
	v_accvgpr_write_b32 a36, v50
	v_pk_add_f32 v[48:49], v[2:3], v[10:11] op_sel:[0,1] op_sel_hi:[1,0]
	v_pk_add_f32 v[10:11], v[2:3], v[10:11] op_sel:[0,1] op_sel_hi:[1,0] neg_lo:[0,1] neg_hi:[0,1]
	v_mul_u32_u24_e32 v2, 3, v134
	v_lshlrev_b32_e32 v67, 3, v2
	s_waitcnt lgkmcnt(0)
	v_pk_add_f32 v[2:3], v[4:5], v[14:15]
	v_accvgpr_write_b32 a37, v51
	v_accvgpr_write_b32 a38, v52
	v_pk_add_f32 v[50:51], v[2:3], v[12:13]
	v_pk_add_f32 v[2:3], v[14:15], v[12:13]
	v_accvgpr_write_b32 a40, v54
	v_accvgpr_write_b32 a39, v53
	v_pk_fma_f32 v[52:53], v[2:3], 0.5, v[4:5] op_sel_hi:[1,0,1] neg_lo:[1,0,0] neg_hi:[1,0,0]
	v_pk_add_f32 v[2:3], v[14:15], v[12:13] neg_lo:[0,1] neg_hi:[0,1]
	v_accvgpr_write_b32 a41, v55
	v_pk_mul_f32 v[12:13], v[2:3], s[2:3] op_sel_hi:[1,0]
	ds_read2_b64 v[2:5], v153 offset0:120 offset1:183
	ds_read_b64 v[54:55], v228 offset:13104
	v_accvgpr_write_b32 a44, v58
	v_accvgpr_write_b32 a42, v56
	;; [unrolled: 1-line block ×4, first 2 shown]
	s_waitcnt lgkmcnt(1)
	v_pk_add_f32 v[56:57], v[0:1], v[4:5]
	v_pk_add_f32 v[58:59], v[4:5], v[8:9]
	v_pk_add_f32 v[4:5], v[4:5], v[8:9] neg_lo:[0,1] neg_hi:[0,1]
	v_pk_fma_f32 v[0:1], v[58:59], 0.5, v[0:1] op_sel_hi:[1,0,1] neg_lo:[1,0,0] neg_hi:[1,0,0]
	v_pk_mul_f32 v[4:5], v[4:5], s[2:3] op_sel_hi:[1,0]
	v_pk_add_f32 v[56:57], v[56:57], v[8:9]
	v_pk_add_f32 v[8:9], v[0:1], v[4:5] op_sel:[0,1] op_sel_hi:[1,0]
	v_pk_add_f32 v[0:1], v[0:1], v[4:5] op_sel:[0,1] op_sel_hi:[1,0] neg_lo:[0,1] neg_hi:[0,1]
	s_waitcnt lgkmcnt(0)
	v_mov_b32_e32 v5, v1
	v_mov_b32_e32 v1, v9
	; wave barrier
	v_mov_b32_e32 v4, v8
	ds_write_b64 v64, v[0:1] offset:16
	v_mov_b32_e32 v0, v20
	v_mov_b32_e32 v1, v23
	ds_write2_b64 v64, v[56:57], v[4:5] offset1:1
	ds_write2_b64 v60, v[18:19], v[0:1] offset1:1
	v_mov_b32_e32 v23, v21
	v_mov_b32_e32 v0, v26
	v_mov_b32_e32 v1, v7
	ds_write_b64 v60, v[22:23] offset:16
	ds_write2_b64 v61, v[24:25], v[0:1] offset1:1
	v_mov_b32_e32 v7, v27
	v_mov_b32_e32 v0, v32
	v_mov_b32_e32 v1, v31
	ds_write_b64 v61, v[6:7] offset:16
	;; [unrolled: 5-line block ×3, first 2 shown]
	ds_write2_b64 v63, v[34:35], v[0:1] offset1:1
	v_mov_b32_e32 v39, v37
	v_mov_b32_e32 v0, v44
	;; [unrolled: 1-line block ×3, first 2 shown]
	v_pk_add_f32 v[14:15], v[52:53], v[12:13] op_sel:[0,1] op_sel_hi:[1,0]
	v_pk_add_f32 v[12:13], v[52:53], v[12:13] op_sel:[0,1] op_sel_hi:[1,0] neg_lo:[0,1] neg_hi:[0,1]
	ds_write_b64 v63, v[38:39] offset:16
	ds_write2_b64 v65, v[40:41], v[0:1] offset1:1
	v_mov_b32_e32 v43, v45
	v_mov_b32_e32 v0, v48
	;; [unrolled: 1-line block ×3, first 2 shown]
	ds_write_b64 v65, v[42:43] offset:16
	ds_write2_b64 v66, v[46:47], v[0:1] offset1:1
	v_mov_b32_e32 v11, v49
	v_mov_b32_e32 v0, v14
	;; [unrolled: 1-line block ×3, first 2 shown]
	v_accvgpr_write_b32 a54, v68
	v_mul_u32_u24_e32 v52, 3, v136
	ds_write_b64 v66, v[10:11] offset:16
	ds_write2_b64 v67, v[50:51], v[0:1] offset1:1
	v_pk_add_f32 v[0:1], v[16:17], v[54:55]
	v_accvgpr_write_b32 a55, v69
	v_lshlrev_b32_e32 v68, 3, v52
	v_pk_add_f32 v[52:53], v[2:3], v[16:17]
	v_pk_fma_f32 v[0:1], v[0:1], 0.5, v[2:3] op_sel_hi:[1,0,1] neg_lo:[1,0,0] neg_hi:[1,0,0]
	v_pk_add_f32 v[2:3], v[16:17], v[54:55] neg_lo:[0,1] neg_hi:[0,1]
	v_mov_b32_e32 v13, v15
	v_pk_mul_f32 v[2:3], v[2:3], s[2:3] op_sel_hi:[1,0]
	s_movk_i32 s3, 0xab
	v_pk_add_f32 v[4:5], v[0:1], v[2:3] op_sel:[0,1] op_sel_hi:[1,0]
	v_pk_add_f32 v[0:1], v[0:1], v[2:3] op_sel:[0,1] op_sel_hi:[1,0] neg_lo:[0,1] neg_hi:[0,1]
	ds_write_b64 v67, v[12:13] offset:16
	v_mov_b32_e32 v3, v1
	v_mov_b32_e32 v1, v5
	ds_write_b64 v68, v[0:1] offset:16
	v_mul_lo_u16_sdwa v0, v252, s3 dst_sel:DWORD dst_unused:UNUSED_PAD src0_sel:BYTE_0 src1_sel:DWORD
	v_lshrrev_b16_e32 v12, 9, v0
	v_mul_lo_u16_sdwa v1, v110, s3 dst_sel:DWORD dst_unused:UNUSED_PAD src0_sel:BYTE_0 src1_sel:DWORD
	v_mul_lo_u16_e32 v0, 3, v12
	v_lshrrev_b16_e32 v14, 9, v1
	v_sub_u16_e32 v0, v252, v0
	v_mul_lo_u16_e32 v1, 3, v14
	v_and_b32_e32 v13, 0xff, v0
	v_sub_u16_e32 v1, v110, v1
	v_pk_add_f32 v[52:53], v[52:53], v[54:55]
	v_mov_b32_e32 v2, v4
	v_lshlrev_b32_e32 v0, 4, v13
	v_and_b32_e32 v15, 0xff, v1
	scratch_store_dword off, v64, off offset:32 ; 4-byte Folded Spill
	scratch_store_dword off, v60, off offset:28 ; 4-byte Folded Spill
	;; [unrolled: 1-line block ×8, first 2 shown]
	ds_write2_b64 v68, v[52:53], v[2:3] offset1:1
	scratch_store_dword off, v68, off       ; 4-byte Folded Spill
	s_waitcnt lgkmcnt(0)
	; wave barrier
	s_waitcnt lgkmcnt(0)
	v_lshlrev_b32_e32 v1, 4, v15
	global_load_dwordx4 v[30:33], v0, s[10:11]
	global_load_dwordx4 v[72:75], v1, s[10:11]
	v_mul_lo_u16_sdwa v0, v108, s3 dst_sel:DWORD dst_unused:UNUSED_PAD src0_sel:BYTE_0 src1_sel:DWORD
	v_lshrrev_b16_e32 v16, 9, v0
	v_mul_lo_u16_sdwa v1, v160, s3 dst_sel:DWORD dst_unused:UNUSED_PAD src0_sel:BYTE_0 src1_sel:DWORD
	v_mul_lo_u16_e32 v0, 3, v16
	v_lshrrev_b16_e32 v18, 9, v1
	v_sub_u16_e32 v0, v108, v0
	v_mul_lo_u16_e32 v1, 3, v18
	v_and_b32_e32 v17, 0xff, v0
	v_sub_u16_e32 v1, v160, v1
	v_lshlrev_b32_e32 v0, 4, v17
	v_and_b32_e32 v19, 0xff, v1
	s_mov_b32 s3, 0xaaab
	v_lshlrev_b32_e32 v1, 4, v19
	global_load_dwordx4 v[76:79], v0, s[10:11]
	global_load_dwordx4 v[66:69], v1, s[10:11]
	v_mul_u32_u24_sdwa v0, v112, s3 dst_sel:DWORD dst_unused:UNUSED_PAD src0_sel:WORD_0 src1_sel:DWORD
	v_lshrrev_b32_e32 v20, 17, v0
	v_mul_u32_u24_sdwa v1, v114, s3 dst_sel:DWORD dst_unused:UNUSED_PAD src0_sel:WORD_0 src1_sel:DWORD
	v_mul_lo_u16_e32 v0, 3, v20
	v_lshrrev_b32_e32 v22, 17, v1
	v_sub_u16_e32 v21, v112, v0
	v_mul_lo_u16_e32 v1, 3, v22
	v_lshlrev_b16_e32 v0, 1, v21
	v_sub_u16_e32 v23, v114, v1
	v_lshlrev_b32_e32 v0, 3, v0
	v_lshlrev_b16_e32 v1, 1, v23
	v_lshlrev_b32_e32 v1, 3, v1
	global_load_dwordx4 v[92:95], v0, s[10:11]
	global_load_dwordx4 v[60:63], v1, s[10:11]
	v_mul_u32_u24_sdwa v0, v132, s3 dst_sel:DWORD dst_unused:UNUSED_PAD src0_sel:WORD_0 src1_sel:DWORD
	v_lshrrev_b32_e32 v24, 17, v0
	v_mul_u32_u24_sdwa v1, v134, s3 dst_sel:DWORD dst_unused:UNUSED_PAD src0_sel:WORD_0 src1_sel:DWORD
	v_mul_lo_u16_e32 v0, 3, v24
	v_lshrrev_b32_e32 v26, 17, v1
	v_sub_u16_e32 v25, v132, v0
	v_mul_lo_u16_e32 v1, 3, v26
	v_lshlrev_b16_e32 v0, 1, v25
	v_sub_u16_e32 v27, v134, v1
	v_lshlrev_b32_e32 v0, 3, v0
	v_lshlrev_b16_e32 v1, 1, v27
	v_lshlrev_b32_e32 v1, 3, v1
	global_load_dwordx4 v[56:59], v0, s[10:11]
	global_load_dwordx4 v[8:11], v1, s[10:11]
	v_mul_u32_u24_sdwa v0, v136, s3 dst_sel:DWORD dst_unused:UNUSED_PAD src0_sel:WORD_0 src1_sel:DWORD
	v_lshrrev_b32_e32 v28, 17, v0
	v_mul_lo_u16_e32 v0, 3, v28
	v_sub_u16_e32 v29, v136, v0
	v_lshlrev_b16_e32 v0, 1, v29
	v_lshlrev_b32_e32 v0, 3, v0
	global_load_dwordx4 v[122:125], v0, s[10:11]
	ds_read2_b64 v[0:3], v151 offset0:112 offset1:175
	ds_read2_b64 v[40:43], v149 offset0:114 offset1:177
	s_movk_i32 s12, 0xffee
	s_mov_b32 s13, -1
	s_waitcnt vmcnt(8)
	v_mov_b32_e32 v34, v33
	s_waitcnt vmcnt(7)
	v_mov_b32_e32 v80, v72
	v_mov_b32_e32 v230, v75
	v_accvgpr_write_b32 a59, v73
	v_accvgpr_write_b32 a56, v72
	;; [unrolled: 1-line block ×7, first 2 shown]
	s_waitcnt vmcnt(6)
	v_mov_b32_e32 v70, v76
	s_waitcnt vmcnt(5)
	v_mov_b32_e32 v44, v66
	v_mov_b32_e32 v96, v69
	v_accvgpr_write_b32 a74, v68
	v_accvgpr_write_b32 a88, v69
	v_accvgpr_write_b32 a73, v67
	v_mov_b32_e32 v82, v79
	v_accvgpr_write_b32 a72, v66
	v_accvgpr_write_b32 a61, v77
	;; [unrolled: 1-line block ×5, first 2 shown]
	s_waitcnt vmcnt(4)
	v_mov_b32_e32 v64, v92
	s_waitcnt vmcnt(3)
	v_mov_b32_e32 v86, v60
	v_mov_b32_e32 v88, v63
	;; [unrolled: 1-line block ×3, first 2 shown]
	v_accvgpr_write_b32 a78, v62
	v_accvgpr_write_b32 a92, v60
	;; [unrolled: 1-line block ×8, first 2 shown]
	s_waitcnt vmcnt(2)
	v_mov_b32_e32 v52, v56
	s_waitcnt vmcnt(1)
	v_mov_b32_e32 v6, v8
	v_mov_b32_e32 v50, v11
	v_accvgpr_write_b32 a94, v10
	v_mov_b32_e32 v54, v59
	v_accvgpr_write_b32 a106, v8
	v_accvgpr_write_b32 a93, v9
	;; [unrolled: 1-line block ×3, first 2 shown]
	s_waitcnt vmcnt(0)
	v_mov_b32_e32 v36, v122
	s_waitcnt lgkmcnt(1)
	v_pk_mul_f32 v[4:5], v[2:3], v[122:123] op_sel:[0,1]
	v_accvgpr_write_b32 a86, v58
	v_pk_fma_f32 v[46:47], v[2:3], v[36:37], v[4:5] op_sel:[0,0,1] op_sel_hi:[1,1,0] neg_lo:[0,0,1] neg_hi:[0,0,1]
	ds_read2_b64 v[36:39], v155 offset0:104 offset1:167
	v_pk_fma_f32 v[4:5], v[2:3], v[122:123], v[4:5] op_sel:[0,0,1] op_sel_hi:[1,0,0]
	v_pk_mul_f32 v[2:3], v[0:1], v[8:9] op_sel:[0,1]
	v_accvgpr_write_b32 a100, v56
	v_pk_fma_f32 v[48:49], v[0:1], v[6:7], v[2:3] op_sel:[0,0,1] op_sel_hi:[1,1,0] neg_lo:[0,0,1] neg_hi:[0,0,1]
	v_pk_fma_f32 v[6:7], v[0:1], v[8:9], v[2:3] op_sel:[0,0,1] op_sel_hi:[1,0,0]
	s_waitcnt lgkmcnt(0)
	v_pk_mul_f32 v[0:1], v[38:39], v[50:51] op_sel_hi:[1,0]
	v_accvgpr_write_b32 a85, v57
	v_pk_fma_f32 v[50:51], v[38:39], v[10:11], v[0:1] op_sel:[0,0,1] op_sel_hi:[1,1,0] neg_lo:[0,0,1] neg_hi:[0,0,1]
	v_pk_fma_f32 v[8:9], v[38:39], v[10:11], v[0:1] op_sel:[0,0,1] op_sel_hi:[1,0,0]
	v_pk_mul_f32 v[0:1], v[42:43], v[56:57] op_sel:[0,1]
	v_accvgpr_write_b32 a108, v59
	v_pk_fma_f32 v[52:53], v[42:43], v[52:53], v[0:1] op_sel:[0,0,1] op_sel_hi:[1,1,0] neg_lo:[0,0,1] neg_hi:[0,0,1]
	v_pk_fma_f32 v[10:11], v[42:43], v[56:57], v[0:1] op_sel:[0,0,1] op_sel_hi:[1,0,0]
	v_pk_mul_f32 v[0:1], v[36:37], v[54:55] op_sel_hi:[1,0]
	v_pk_mul_f32 v[42:43], v[40:41], v[60:61] op_sel:[0,1]
	v_pk_fma_f32 v[54:55], v[36:37], v[58:59], v[0:1] op_sel:[0,0,1] op_sel_hi:[1,1,0] neg_lo:[0,0,1] neg_hi:[0,0,1]
	v_pk_fma_f32 v[84:85], v[36:37], v[58:59], v[0:1] op_sel:[0,0,1] op_sel_hi:[1,0,0]
	ds_read2_b64 v[0:3], v148 offset0:106 offset1:169
	ds_read2_b64 v[36:39], v109 offset0:116 offset1:179
	v_pk_fma_f32 v[56:57], v[40:41], v[86:87], v[42:43] op_sel:[0,0,1] op_sel_hi:[1,1,0] neg_lo:[0,0,1] neg_hi:[0,0,1]
	v_pk_fma_f32 v[86:87], v[40:41], v[60:61], v[42:43] op_sel:[0,0,1] op_sel_hi:[1,0,0]
	v_mov_b32_e32 v4, v30
	s_waitcnt lgkmcnt(1)
	v_pk_mul_f32 v[40:41], v[2:3], v[88:89] op_sel_hi:[1,0]
	v_mov_b32_e32 v47, v5
	v_pk_fma_f32 v[58:59], v[2:3], v[62:63], v[40:41] op_sel:[0,0,1] op_sel_hi:[1,1,0] neg_lo:[0,0,1] neg_hi:[0,0,1]
	v_pk_fma_f32 v[88:89], v[2:3], v[62:63], v[40:41] op_sel:[0,0,1] op_sel_hi:[1,0,0]
	s_waitcnt lgkmcnt(0)
	v_pk_mul_f32 v[2:3], v[38:39], v[92:93] op_sel:[0,1]
	v_mov_b32_e32 v49, v7
	v_pk_fma_f32 v[60:61], v[38:39], v[64:65], v[2:3] op_sel:[0,0,1] op_sel_hi:[1,1,0] neg_lo:[0,0,1] neg_hi:[0,0,1]
	v_pk_fma_f32 v[90:91], v[38:39], v[92:93], v[2:3] op_sel:[0,0,1] op_sel_hi:[1,0,0]
	v_pk_mul_f32 v[2:3], v[0:1], v[98:99] op_sel_hi:[1,0]
	ds_read2_b64 v[38:41], v152 offset0:108 offset1:171
	v_pk_fma_f32 v[62:63], v[0:1], v[94:95], v[2:3] op_sel:[0,0,1] op_sel_hi:[1,1,0] neg_lo:[0,0,1] neg_hi:[0,0,1]
	v_pk_fma_f32 v[92:93], v[0:1], v[94:95], v[2:3] op_sel:[0,0,1] op_sel_hi:[1,0,0]
	v_pk_mul_f32 v[0:1], v[36:37], v[66:67] op_sel:[0,1]
	v_mov_b32_e32 v51, v9
	v_pk_fma_f32 v[64:65], v[36:37], v[44:45], v[0:1] op_sel:[0,0,1] op_sel_hi:[1,1,0] neg_lo:[0,0,1] neg_hi:[0,0,1]
	ds_read2_b64 v[42:45], v146 offset0:118 offset1:181
	v_pk_fma_f32 v[94:95], v[36:37], v[66:67], v[0:1] op_sel:[0,0,1] op_sel_hi:[1,0,0]
	s_waitcnt lgkmcnt(1)
	v_pk_mul_f32 v[2:3], v[40:41], v[96:97] op_sel_hi:[1,0]
	v_pk_add_f32 v[6:7], v[48:49], v[50:51] neg_lo:[0,1] neg_hi:[0,1]
	v_pk_fma_f32 v[0:1], v[40:41], v[68:69], v[2:3] op_sel:[0,0,1] op_sel_hi:[1,1,0] neg_lo:[0,0,1] neg_hi:[0,0,1]
	s_waitcnt lgkmcnt(0)
	v_pk_mul_f32 v[36:37], v[44:45], v[76:77] op_sel:[0,1]
	v_pk_fma_f32 v[96:97], v[40:41], v[68:69], v[2:3] op_sel:[0,0,1] op_sel_hi:[1,0,0]
	v_pk_fma_f32 v[2:3], v[44:45], v[70:71], v[36:37] op_sel:[0,0,1] op_sel_hi:[1,1,0] neg_lo:[0,0,1] neg_hi:[0,0,1]
	ds_read2_b64 v[68:71], v147 offset0:110 offset1:173
	v_pk_fma_f32 v[98:99], v[44:45], v[76:77], v[36:37] op_sel:[0,0,1] op_sel_hi:[1,0,0]
	v_pk_mul_f32 v[36:37], v[38:39], v[82:83] op_sel_hi:[1,0]
	v_mul_u32_u24_e32 v1, 9, v12
	v_pk_fma_f32 v[66:67], v[38:39], v[78:79], v[36:37] op_sel:[0,0,1] op_sel_hi:[1,1,0] neg_lo:[0,0,1] neg_hi:[0,0,1]
	v_pk_fma_f32 v[100:101], v[38:39], v[78:79], v[36:37] op_sel:[0,0,1] op_sel_hi:[1,0,0]
	v_pk_mul_f32 v[36:37], v[42:43], v[72:73] op_sel:[0,1]
	ds_read2_b64 v[76:79], v228 offset1:63
	v_pk_fma_f32 v[102:103], v[42:43], v[80:81], v[36:37] op_sel:[0,0,1] op_sel_hi:[1,1,0] neg_lo:[0,0,1] neg_hi:[0,0,1]
	v_pk_fma_f32 v[104:105], v[42:43], v[72:73], v[36:37] op_sel:[0,0,1] op_sel_hi:[1,0,0]
	s_waitcnt lgkmcnt(1)
	v_pk_mul_f32 v[36:37], v[70:71], v[230:231] op_sel_hi:[1,0]
	v_pk_mul_f32 v[6:7], v[6:7], s[2:3] op_sel_hi:[1,0]
	v_pk_fma_f32 v[106:107], v[70:71], v[74:75], v[36:37] op_sel:[0,0,1] op_sel_hi:[1,1,0] neg_lo:[0,0,1] neg_hi:[0,0,1]
	v_pk_fma_f32 v[116:117], v[70:71], v[74:75], v[36:37] op_sel:[0,0,1] op_sel_hi:[1,0,0]
	v_pk_mul_f32 v[36:37], v[68:69], v[34:35] op_sel_hi:[1,0]
	v_mov_b32_e32 v53, v11
	v_pk_fma_f32 v[40:41], v[68:69], v[32:33], v[36:37] op_sel:[0,0,1] op_sel_hi:[1,1,0] neg_lo:[0,0,1] neg_hi:[0,0,1]
	v_pk_fma_f32 v[42:43], v[68:69], v[32:33], v[36:37] op_sel:[0,0,1] op_sel_hi:[1,0,0]
	ds_read2_b64 v[36:39], v153 offset0:120 offset1:183
	v_mov_b32_e32 v41, v43
	v_mov_b32_e32 v55, v85
	;; [unrolled: 1-line block ×4, first 2 shown]
	s_waitcnt lgkmcnt(0)
	v_pk_mul_f32 v[44:45], v[38:39], v[30:31] op_sel:[0,1]
	v_pk_add_f32 v[10:11], v[56:57], v[58:59] neg_lo:[0,1] neg_hi:[0,1]
	v_pk_fma_f32 v[68:69], v[38:39], v[4:5], v[44:45] op_sel:[0,0,1] op_sel_hi:[1,1,0] neg_lo:[0,0,1] neg_hi:[0,0,1]
	v_pk_fma_f32 v[38:39], v[38:39], v[30:31], v[44:45] op_sel:[0,0,1] op_sel_hi:[1,0,0]
	v_mov_b32_e32 v4, v125
	v_mov_b32_e32 v69, v39
	v_pk_add_f32 v[38:39], v[76:77], v[68:69]
	v_add_lshl_u32 v30, v1, v13, 3
	v_pk_add_f32 v[70:71], v[38:39], v[40:41]
	v_pk_add_f32 v[38:39], v[68:69], v[40:41]
	v_pk_add_f32 v[40:41], v[68:69], v[40:41] neg_lo:[0,1] neg_hi:[0,1]
	v_pk_fma_f32 v[38:39], v[38:39], 0.5, v[76:77] op_sel_hi:[1,0,1] neg_lo:[1,0,0] neg_hi:[1,0,0]
	v_pk_mul_f32 v[40:41], v[40:41], s[2:3] op_sel_hi:[1,0]
	v_pk_mul_f32 v[10:11], v[10:11], s[2:3] op_sel_hi:[1,0]
	v_pk_add_f32 v[118:119], v[38:39], v[40:41] op_sel:[0,1] op_sel_hi:[1,0]
	v_pk_add_f32 v[120:121], v[38:39], v[40:41] op_sel:[0,1] op_sel_hi:[1,0] neg_lo:[0,1] neg_hi:[0,1]
	ds_read_b64 v[72:73], v228 offset:13104
	ds_read2_b64 v[38:41], v150 offset0:122 offset1:185
	ds_read2_b64 v[42:45], v154 offset0:124 offset1:187
	;; [unrolled: 1-line block ×3, first 2 shown]
	v_mov_b32_e32 v68, v118
	v_mov_b32_e32 v69, v121
	s_waitcnt lgkmcnt(3)
	v_pk_mul_f32 v[4:5], v[72:73], v[4:5] op_sel_hi:[1,0]
	s_waitcnt lgkmcnt(0)
	; wave barrier
	s_waitcnt lgkmcnt(0)
	ds_write2_b64 v30, v[70:71], v[68:69] offset1:3
	v_pk_fma_f32 v[68:69], v[72:73], v[124:125], v[4:5] op_sel:[0,0,1] op_sel_hi:[1,1,0] neg_lo:[0,0,1] neg_hi:[0,0,1]
	v_pk_fma_f32 v[4:5], v[72:73], v[124:125], v[4:5] op_sel:[0,0,1] op_sel_hi:[1,0,0]
	v_mov_b32_e32 v61, v91
	v_mov_b32_e32 v69, v5
	v_pk_add_f32 v[4:5], v[46:47], v[68:69]
	v_pk_add_f32 v[70:71], v[46:47], v[68:69] neg_lo:[0,1] neg_hi:[0,1]
	v_pk_fma_f32 v[4:5], v[4:5], 0.5, v[36:37] op_sel_hi:[1,0,1] neg_lo:[1,0,0] neg_hi:[1,0,0]
	v_pk_mul_f32 v[72:73], v[70:71], s[2:3] op_sel_hi:[1,0]
	v_mov_b32_e32 v63, v93
	v_pk_add_f32 v[70:71], v[4:5], v[72:73] op_sel:[0,1] op_sel_hi:[1,0] neg_lo:[0,1] neg_hi:[0,1]
	v_pk_add_f32 v[72:73], v[4:5], v[72:73] op_sel:[0,1] op_sel_hi:[1,0]
	v_pk_add_f32 v[4:5], v[48:49], v[50:51]
	v_pk_add_f32 v[86:87], v[60:61], v[62:63] neg_lo:[0,1] neg_hi:[0,1]
	v_pk_fma_f32 v[4:5], v[4:5], 0.5, v[40:41] op_sel_hi:[1,0,1] neg_lo:[1,0,0] neg_hi:[1,0,0]
	v_pk_mul_f32 v[86:87], v[86:87], s[2:3] op_sel_hi:[1,0]
	v_pk_add_f32 v[74:75], v[4:5], v[6:7] op_sel:[0,1] op_sel_hi:[1,0] neg_lo:[0,1] neg_hi:[0,1]
	v_pk_add_f32 v[76:77], v[4:5], v[6:7] op_sel:[0,1] op_sel_hi:[1,0]
	v_pk_add_f32 v[4:5], v[52:53], v[54:55]
	v_pk_add_f32 v[6:7], v[52:53], v[54:55] neg_lo:[0,1] neg_hi:[0,1]
	v_pk_fma_f32 v[4:5], v[4:5], 0.5, v[38:39] op_sel_hi:[1,0,1] neg_lo:[1,0,0] neg_hi:[1,0,0]
	v_pk_mul_f32 v[6:7], v[6:7], s[2:3] op_sel_hi:[1,0]
	v_mov_b32_e32 v103, v105
	v_pk_add_f32 v[8:9], v[4:5], v[6:7] op_sel:[0,1] op_sel_hi:[1,0] neg_lo:[0,1] neg_hi:[0,1]
	v_pk_add_f32 v[4:5], v[4:5], v[6:7] op_sel:[0,1] op_sel_hi:[1,0]
	v_pk_add_f32 v[6:7], v[56:57], v[58:59]
	v_mov_b32_e32 v107, v117
	v_pk_fma_f32 v[6:7], v[6:7], 0.5, v[44:45] op_sel_hi:[1,0,1] neg_lo:[1,0,0] neg_hi:[1,0,0]
	v_pk_add_f32 v[92:93], v[102:103], v[106:107] neg_lo:[0,1] neg_hi:[0,1]
	v_pk_add_f32 v[84:85], v[6:7], v[10:11] op_sel:[0,1] op_sel_hi:[1,0] neg_lo:[0,1] neg_hi:[0,1]
	v_pk_add_f32 v[6:7], v[6:7], v[10:11] op_sel:[0,1] op_sel_hi:[1,0]
	v_pk_add_f32 v[10:11], v[60:61], v[62:63]
	v_pk_mul_f32 v[92:93], v[92:93], s[2:3] op_sel_hi:[1,0]
	v_pk_fma_f32 v[10:11], v[10:11], 0.5, v[42:43] op_sel_hi:[1,0,1] neg_lo:[1,0,0] neg_hi:[1,0,0]
	v_mov_b32_e32 v65, v95
	v_pk_add_f32 v[88:89], v[10:11], v[86:87] op_sel:[0,1] op_sel_hi:[1,0] neg_lo:[0,1] neg_hi:[0,1]
	v_pk_add_f32 v[10:11], v[10:11], v[86:87] op_sel:[0,1] op_sel_hi:[1,0]
	v_pk_add_f32 v[86:87], v[102:103], v[106:107]
	v_mul_u32_u24_e32 v12, 9, v14
	v_pk_fma_f32 v[86:87], v[86:87], 0.5, v[78:79] op_sel_hi:[1,0,1] neg_lo:[1,0,0] neg_hi:[1,0,0]
	v_pk_add_f32 v[78:79], v[78:79], v[102:103]
	v_pk_add_f32 v[94:95], v[86:87], v[92:93] op_sel:[0,1] op_sel_hi:[1,0]
	v_pk_add_f32 v[86:87], v[86:87], v[92:93] op_sel:[0,1] op_sel_hi:[1,0] neg_lo:[0,1] neg_hi:[0,1]
	v_mov_b32_e32 v3, v99
	v_mov_b32_e32 v67, v101
	;; [unrolled: 1-line block ×3, first 2 shown]
	v_add_lshl_u32 v32, v12, v15, 3
	v_pk_add_f32 v[78:79], v[78:79], v[106:107]
	v_mov_b32_e32 v92, v94
	v_mov_b32_e32 v93, v87
	;; [unrolled: 1-line block ×3, first 2 shown]
	ds_write_b64 v30, v[120:121] offset:48
	ds_write2_b64 v32, v[78:79], v[92:93] offset1:3
	v_pk_add_f32 v[78:79], v[80:81], v[2:3]
	ds_write_b64 v32, v[86:87] offset:48
	v_pk_add_f32 v[86:87], v[2:3], v[66:67]
	v_pk_add_f32 v[2:3], v[2:3], v[66:67] neg_lo:[0,1] neg_hi:[0,1]
	v_pk_fma_f32 v[80:81], v[86:87], 0.5, v[80:81] op_sel_hi:[1,0,1] neg_lo:[1,0,0] neg_hi:[1,0,0]
	v_pk_mul_f32 v[2:3], v[2:3], s[2:3] op_sel_hi:[1,0]
	v_mul_u32_u24_e32 v12, 9, v16
	v_pk_add_f32 v[78:79], v[78:79], v[66:67]
	v_pk_add_f32 v[66:67], v[80:81], v[2:3] op_sel:[0,1] op_sel_hi:[1,0]
	v_pk_add_f32 v[2:3], v[80:81], v[2:3] op_sel:[0,1] op_sel_hi:[1,0] neg_lo:[0,1] neg_hi:[0,1]
	v_mov_b32_e32 v1, v97
	v_add_lshl_u32 v31, v12, v17, 3
	v_pk_add_f32 v[90:91], v[82:83], v[64:65]
	v_mov_b32_e32 v81, v3
	v_mov_b32_e32 v3, v67
	v_pk_add_f32 v[90:91], v[90:91], v[0:1]
	ds_write_b64 v31, v[2:3] offset:48
	v_pk_add_f32 v[2:3], v[64:65], v[0:1]
	v_pk_add_f32 v[0:1], v[64:65], v[0:1] neg_lo:[0,1] neg_hi:[0,1]
	v_pk_fma_f32 v[2:3], v[2:3], 0.5, v[82:83] op_sel_hi:[1,0,1] neg_lo:[1,0,0] neg_hi:[1,0,0]
	v_pk_mul_f32 v[0:1], v[0:1], s[2:3] op_sel_hi:[1,0]
	v_mul_u32_u24_e32 v12, 9, v18
	v_pk_add_f32 v[64:65], v[2:3], v[0:1] op_sel:[0,1] op_sel_hi:[1,0]
	v_pk_add_f32 v[0:1], v[2:3], v[0:1] op_sel:[0,1] op_sel_hi:[1,0] neg_lo:[0,1] neg_hi:[0,1]
	v_add_lshl_u32 v18, v12, v19, 3
	v_mov_b32_e32 v80, v66
	v_mov_b32_e32 v3, v1
	v_mov_b32_e32 v1, v65
	v_mad_legacy_u16 v12, v20, 9, v21
	ds_write2_b64 v31, v[78:79], v[80:81] offset1:3
	v_mov_b32_e32 v2, v64
	ds_write_b64 v18, v[0:1] offset:48
	v_pk_add_f32 v[0:1], v[42:43], v[60:61]
	v_lshlrev_b32_e32 v17, 3, v12
	ds_write2_b64 v18, v[90:91], v[2:3] offset1:3
	v_pk_add_f32 v[0:1], v[0:1], v[62:63]
	v_mov_b32_e32 v2, v10
	v_mov_b32_e32 v3, v89
	v_mad_legacy_u16 v13, v22, 9, v23
	ds_write2_b64 v17, v[0:1], v[2:3] offset1:3
	v_pk_add_f32 v[0:1], v[44:45], v[56:57]
	v_lshlrev_b32_e32 v16, 3, v13
	v_mov_b32_e32 v89, v11
	v_pk_add_f32 v[0:1], v[0:1], v[58:59]
	v_mov_b32_e32 v2, v6
	v_mov_b32_e32 v3, v85
	v_mad_legacy_u16 v14, v24, 9, v25
	ds_write_b64 v17, v[88:89] offset:48
	ds_write2_b64 v16, v[0:1], v[2:3] offset1:3
	v_pk_add_f32 v[0:1], v[38:39], v[52:53]
	v_lshlrev_b32_e32 v14, 3, v14
	v_mov_b32_e32 v85, v7
	v_pk_add_f32 v[0:1], v[0:1], v[54:55]
	v_mov_b32_e32 v2, v4
	v_mov_b32_e32 v3, v9
	v_mad_legacy_u16 v15, v26, 9, v27
	ds_write_b64 v16, v[84:85] offset:48
	;; [unrolled: 9-line block ×3, first 2 shown]
	ds_write2_b64 v13, v[0:1], v[2:3] offset1:3
	v_pk_add_f32 v[0:1], v[36:37], v[46:47]
	v_lshlrev_b32_e32 v12, 3, v12
	v_mov_b32_e32 v75, v77
	v_pk_add_f32 v[0:1], v[0:1], v[68:69]
	v_mov_b32_e32 v2, v72
	v_mov_b32_e32 v3, v71
	s_mov_b32 s3, 0xe38f
	ds_write_b64 v13, v[74:75] offset:48
	ds_write2_b64 v12, v[0:1], v[2:3] offset1:3
	v_mov_b32_e32 v71, v73
	v_mul_u32_u24_sdwa v2, v132, s3 dst_sel:DWORD dst_unused:UNUSED_PAD src0_sel:WORD_0 src1_sel:DWORD
	scratch_store_dword off, v12, off offset:44 ; 4-byte Folded Spill
	ds_write_b64 v12, v[70:71] offset:48
	v_lshrrev_b32_e32 v12, 19, v2
	v_mul_u32_u24_sdwa v4, v134, s3 dst_sel:DWORD dst_unused:UNUSED_PAD src0_sel:WORD_0 src1_sel:DWORD
	v_mul_u32_u24_sdwa v0, v114, s3 dst_sel:DWORD dst_unused:UNUSED_PAD src0_sel:WORD_0 src1_sel:DWORD
	v_mul_lo_u16_e32 v2, 9, v12
	v_lshrrev_b32_e32 v8, 19, v4
	scratch_store_dword off, v13, off offset:40 ; 4-byte Folded Spill
	v_lshrrev_b32_e32 v6, 19, v0
	v_sub_u16_e32 v13, v132, v2
	v_mul_lo_u16_e32 v4, 9, v8
	scratch_store_dword off, v14, off offset:52 ; 4-byte Folded Spill
	v_mul_lo_u16_e32 v0, 9, v6
	v_lshlrev_b16_e32 v2, 4, v13
	v_mov_b32_e32 v3, v215
	v_sub_u16_e32 v14, v134, v4
	v_sub_u16_e32 v9, v114, v0
	v_lshl_add_u64 v[2:3], s[10:11], 0, v[2:3]
	v_lshlrev_b16_e32 v4, 4, v14
	v_mov_b32_e32 v5, v215
	scratch_store_dword off, v30, off offset:36 ; 4-byte Folded Spill
	scratch_store_dword off, v32, off offset:56 ; 4-byte Folded Spill
	;; [unrolled: 1-line block ×6, first 2 shown]
	s_waitcnt lgkmcnt(0)
	; wave barrier
	s_waitcnt lgkmcnt(0)
	v_lshlrev_b16_e32 v0, 4, v9
	v_mov_b32_e32 v1, v215
	v_lshl_add_u64 v[4:5], s[10:11], 0, v[4:5]
	global_load_dwordx4 v[36:39], v[2:3], off offset:48
	global_load_dwordx4 v[44:47], v[4:5], off offset:48
	v_mul_u32_u24_sdwa v2, v136, s3 dst_sel:DWORD dst_unused:UNUSED_PAD src0_sel:WORD_0 src1_sel:DWORD
	v_lshl_add_u64 v[0:1], s[10:11], 0, v[0:1]
	v_lshrrev_b32_e32 v4, 19, v2
	global_load_dwordx4 v[28:31], v[0:1], off offset:48
	v_mul_lo_u16_e32 v0, 9, v4
	v_sub_u16_e32 v7, v136, v0
	v_lshlrev_b16_e32 v0, 4, v7
	v_mov_b32_e32 v1, v215
	v_lshl_add_u64 v[0:1], s[10:11], 0, v[0:1]
	global_load_dwordx4 v[48:51], v[0:1], off offset:48
	v_mul_u32_u24_sdwa v0, v112, s3 dst_sel:DWORD dst_unused:UNUSED_PAD src0_sel:WORD_0 src1_sel:DWORD
	v_lshrrev_b32_e32 v5, 19, v0
	v_mul_lo_u16_e32 v0, 9, v5
	v_sub_u16_e32 v15, v112, v0
	v_lshlrev_b16_e32 v0, 4, v15
	v_mov_b32_e32 v1, v215
	v_lshl_add_u64 v[0:1], s[10:11], 0, v[0:1]
	global_load_dwordx4 v[52:55], v[0:1], off offset:48
	ds_read2_b64 v[0:3], v151 offset0:112 offset1:175
	ds_read2_b64 v[60:63], v149 offset0:114 offset1:177
	;; [unrolled: 1-line block ×3, first 2 shown]
	v_accvgpr_write_b32 a101, v123
	v_accvgpr_write_b32 a112, v125
	;; [unrolled: 1-line block ×4, first 2 shown]
	v_mad_legacy_u16 v4, v4, 27, v7
	s_waitcnt vmcnt(4)
	v_mov_b32_e32 v18, v36
	v_mov_b32_e32 v20, v39
	s_waitcnt vmcnt(3)
	v_mov_b32_e32 v24, v44
	v_mov_b32_e32 v22, v47
	v_accvgpr_write_b32 a164, v44
	s_waitcnt vmcnt(2)
	v_mov_b32_e32 v16, v28
	v_accvgpr_write_b32 a162, v47
	v_accvgpr_write_b32 a152, v36
	;; [unrolled: 1-line block ×5, first 2 shown]
	s_waitcnt vmcnt(1)
	v_mov_b32_e32 v26, v48
	s_waitcnt lgkmcnt(2)
	v_pk_mul_f32 v[10:11], v[2:3], v[48:49] op_sel:[0,1]
	v_accvgpr_write_b32 a168, v48
	v_pk_fma_f32 v[72:73], v[2:3], v[26:27], v[10:11] op_sel:[0,0,1] op_sel_hi:[1,1,0] neg_lo:[0,0,1] neg_hi:[0,0,1]
	v_pk_fma_f32 v[74:75], v[2:3], v[48:49], v[10:11] op_sel:[0,0,1] op_sel_hi:[1,0,0]
	s_waitcnt lgkmcnt(1)
	v_pk_mul_f32 v[10:11], v[62:63], v[36:37] op_sel:[0,1]
	v_pk_mul_f32 v[2:3], v[0:1], v[44:45] op_sel:[0,1]
	v_pk_fma_f32 v[80:81], v[62:63], v[18:19], v[10:11] op_sel:[0,0,1] op_sel_hi:[1,1,0] neg_lo:[0,0,1] neg_hi:[0,0,1]
	v_pk_fma_f32 v[84:85], v[62:63], v[36:37], v[10:11] op_sel:[0,0,1] op_sel_hi:[1,0,0]
	ds_read2_b64 v[62:65], v148 offset0:106 offset1:169
	v_pk_fma_f32 v[78:79], v[0:1], v[24:25], v[2:3] op_sel:[0,0,1] op_sel_hi:[1,1,0] neg_lo:[0,0,1] neg_hi:[0,0,1]
	v_pk_fma_f32 v[0:1], v[0:1], v[44:45], v[2:3] op_sel:[0,0,1] op_sel_hi:[1,0,0]
	s_waitcnt lgkmcnt(1)
	v_pk_mul_f32 v[10:11], v[56:57], v[20:21] op_sel_hi:[1,0]
	v_mov_b32_e32 v0, v31
	v_pk_fma_f32 v[82:83], v[56:57], v[38:39], v[10:11] op_sel:[0,0,1] op_sel_hi:[1,1,0] neg_lo:[0,0,1] neg_hi:[0,0,1]
	v_pk_fma_f32 v[86:87], v[56:57], v[38:39], v[10:11] op_sel:[0,0,1] op_sel_hi:[1,0,0]
	v_pk_mul_f32 v[10:11], v[60:61], v[28:29] op_sel:[0,1]
	v_pk_mul_f32 v[2:3], v[58:59], v[22:23] op_sel_hi:[1,0]
	v_pk_fma_f32 v[90:91], v[60:61], v[16:17], v[10:11] op_sel:[0,0,1] op_sel_hi:[1,1,0] neg_lo:[0,0,1] neg_hi:[0,0,1]
	v_pk_fma_f32 v[92:93], v[60:61], v[28:29], v[10:11] op_sel:[0,0,1] op_sel_hi:[1,0,0]
	s_waitcnt lgkmcnt(0)
	v_pk_mul_f32 v[10:11], v[64:65], v[0:1] op_sel_hi:[1,0]
	s_waitcnt vmcnt(0)
	v_mov_b32_e32 v0, v55
	v_pk_fma_f32 v[88:89], v[64:65], v[30:31], v[10:11] op_sel:[0,0,1] op_sel_hi:[1,1,0] neg_lo:[0,0,1] neg_hi:[0,0,1]
	v_pk_fma_f32 v[94:95], v[64:65], v[30:31], v[10:11] op_sel:[0,0,1] op_sel_hi:[1,0,0]
	ds_read2_b64 v[64:67], v109 offset0:116 offset1:179
	v_pk_fma_f32 v[76:77], v[58:59], v[46:47], v[2:3] op_sel:[0,0,1] op_sel_hi:[1,1,0] neg_lo:[0,0,1] neg_hi:[0,0,1]
	v_pk_fma_f32 v[2:3], v[58:59], v[46:47], v[2:3] op_sel:[0,0,1] op_sel_hi:[1,0,0]
	v_pk_mul_f32 v[10:11], v[62:63], v[0:1] op_sel_hi:[1,0]
	v_mov_b32_e32 v0, 57
	v_mul_lo_u16_sdwa v2, v160, v0 dst_sel:DWORD dst_unused:UNUSED_PAD src0_sel:BYTE_0 src1_sel:DWORD
	v_mov_b32_e32 v16, v52
	s_waitcnt lgkmcnt(0)
	v_pk_mul_f32 v[56:57], v[66:67], v[52:53] op_sel:[0,1]
	v_pk_fma_f32 v[106:107], v[62:63], v[54:55], v[10:11] op_sel:[0,0,1] op_sel_hi:[1,1,0] neg_lo:[0,0,1] neg_hi:[0,0,1]
	v_pk_fma_f32 v[10:11], v[62:63], v[54:55], v[10:11] op_sel:[0,0,1] op_sel_hi:[1,0,0]
	v_lshrrev_b16_e32 v2, 9, v2
	v_pk_fma_f32 v[124:125], v[66:67], v[16:17], v[56:57] op_sel:[0,0,1] op_sel_hi:[1,1,0] neg_lo:[0,0,1] neg_hi:[0,0,1]
	v_mul_lo_u16_sdwa v16, v108, v0 dst_sel:DWORD dst_unused:UNUSED_PAD src0_sel:BYTE_0 src1_sel:DWORD
	v_mul_lo_u16_e32 v10, 9, v2
	v_lshrrev_b16_e32 v16, 9, v16
	v_sub_u16_e32 v10, v160, v10
	v_mul_lo_u16_e32 v17, 9, v16
	v_and_b32_e32 v10, 0xff, v10
	v_sub_u16_e32 v17, v108, v17
	v_and_b32_e32 v17, 0xff, v17
	v_lshlrev_b32_e32 v18, 4, v10
	v_pk_fma_f32 v[126:127], v[66:67], v[52:53], v[56:57] op_sel:[0,0,1] op_sel_hi:[1,0,0]
	v_lshlrev_b32_e32 v19, 4, v17
	global_load_dwordx4 v[60:63], v18, s[10:11] offset:48
	global_load_dwordx4 v[56:59], v19, s[10:11] offset:48
	ds_read2_b64 v[96:99], v146 offset0:118 offset1:181
	v_mov_b32_e32 v125, v127
	v_mov_b32_e32 v107, v11
	;; [unrolled: 1-line block ×4, first 2 shown]
	v_pk_add_f32 v[92:93], v[90:91], v[88:89]
	v_mov_b32_e32 v81, v85
	v_mov_b32_e32 v83, v87
	v_pk_add_f32 v[84:85], v[80:81], v[82:83] neg_lo:[0,1] neg_hi:[0,1]
	v_mov_b32_e32 v79, v1
	v_pk_mul_f32 v[84:85], v[84:85], s[2:3] op_sel_hi:[1,0]
	v_mov_b32_e32 v77, v3
	v_mov_b32_e32 v73, v75
	v_accvgpr_write_b32 a150, v55
	v_accvgpr_write_b32 a160, v52
	v_accvgpr_write_b32 a224, v51
	s_waitcnt vmcnt(1)
	v_mov_b32_e32 v18, v60
	v_pk_mul_f32 v[66:67], v[64:65], v[60:61] op_sel:[0,1]
	s_waitcnt vmcnt(0)
	v_mov_b32_e32 v20, v56
	v_pk_fma_f32 v[128:129], v[64:65], v[18:19], v[66:67] op_sel:[0,0,1] op_sel_hi:[1,1,0] neg_lo:[0,0,1] neg_hi:[0,0,1]
	v_pk_fma_f32 v[130:131], v[64:65], v[60:61], v[66:67] op_sel:[0,0,1] op_sel_hi:[1,0,0]
	ds_read2_b64 v[64:67], v152 offset0:108 offset1:171
	v_mov_b32_e32 v18, v63
	v_mov_b32_e32 v129, v131
	v_accvgpr_write_b32 a172, v60
	v_accvgpr_write_b32 a170, v63
	s_waitcnt lgkmcnt(0)
	v_pk_mul_f32 v[68:69], v[66:67], v[18:19] op_sel_hi:[1,0]
	v_mov_b32_e32 v18, v59
	v_pk_fma_f32 v[138:139], v[66:67], v[62:63], v[68:69] op_sel:[0,0,1] op_sel_hi:[1,1,0] neg_lo:[0,0,1] neg_hi:[0,0,1]
	v_pk_fma_f32 v[140:141], v[66:67], v[62:63], v[68:69] op_sel:[0,0,1] op_sel_hi:[1,0,0]
	v_pk_mul_f32 v[66:67], v[64:65], v[18:19] op_sel_hi:[1,0]
	v_mul_lo_u16_sdwa v18, v110, v0 dst_sel:DWORD dst_unused:UNUSED_PAD src0_sel:BYTE_0 src1_sel:DWORD
	v_lshrrev_b16_e32 v18, 9, v18
	v_mul_lo_u16_sdwa v0, v252, v0 dst_sel:DWORD dst_unused:UNUSED_PAD src0_sel:BYTE_0 src1_sel:DWORD
	v_pk_fma_f32 v[142:143], v[64:65], v[58:59], v[66:67] op_sel:[0,0,1] op_sel_hi:[1,1,0] neg_lo:[0,0,1] neg_hi:[0,0,1]
	v_pk_fma_f32 v[144:145], v[64:65], v[58:59], v[66:67] op_sel:[0,0,1] op_sel_hi:[1,0,0]
	v_mul_lo_u16_e32 v19, 9, v18
	v_pk_mul_f32 v[64:65], v[98:99], v[56:57] op_sel:[0,1]
	v_lshrrev_b16_e32 v0, 9, v0
	v_sub_u16_e32 v19, v110, v19
	v_pk_fma_f32 v[156:157], v[98:99], v[20:21], v[64:65] op_sel:[0,0,1] op_sel_hi:[1,1,0] neg_lo:[0,0,1] neg_hi:[0,0,1]
	v_mul_lo_u16_e32 v20, 9, v0
	v_and_b32_e32 v19, 0xff, v19
	v_sub_u16_e32 v20, v252, v20
	v_and_b32_e32 v20, 0xff, v20
	v_lshlrev_b32_e32 v21, 4, v19
	v_pk_fma_f32 v[158:159], v[98:99], v[56:57], v[64:65] op_sel:[0,0,1] op_sel_hi:[1,0,0]
	v_lshlrev_b32_e32 v22, 4, v20
	global_load_dwordx4 v[68:71], v21, s[10:11] offset:48
	global_load_dwordx4 v[64:67], v22, s[10:11] offset:48
	v_mul_lo_u16_e32 v0, 27, v0
	v_and_b32_e32 v0, 0xff, v0
	v_add_lshl_u32 v0, v0, v20, 3
	v_accvgpr_write_b32 a178, v0
	v_mov_b32_e32 v157, v159
	v_mov_b32_e32 v143, v145
	;; [unrolled: 1-line block ×3, first 2 shown]
	v_accvgpr_write_b32 a166, v59
	v_accvgpr_write_b32 a174, v56
	s_waitcnt vmcnt(1)
	v_mov_b32_e32 v22, v68
	v_pk_mul_f32 v[98:99], v[96:97], v[68:69] op_sel:[0,1]
	v_accvgpr_write_b32 a182, v68
	v_pk_fma_f32 v[162:163], v[96:97], v[22:23], v[98:99] op_sel:[0,0,1] op_sel_hi:[1,1,0] neg_lo:[0,0,1] neg_hi:[0,0,1]
	v_pk_fma_f32 v[164:165], v[96:97], v[68:69], v[98:99] op_sel:[0,0,1] op_sel_hi:[1,0,0]
	ds_read2_b64 v[96:99], v147 offset0:110 offset1:173
	v_mov_b32_e32 v22, v71
	v_mov_b32_e32 v163, v165
	v_accvgpr_write_b32 a180, v71
	s_waitcnt vmcnt(0)
	v_accvgpr_write_b32 a176, v67
	s_waitcnt lgkmcnt(0)
	v_pk_mul_f32 v[100:101], v[98:99], v[22:23] op_sel_hi:[1,0]
	v_mov_b32_e32 v22, v67
	v_pk_fma_f32 v[166:167], v[98:99], v[70:71], v[100:101] op_sel:[0,0,1] op_sel_hi:[1,1,0] neg_lo:[0,0,1] neg_hi:[0,0,1]
	v_pk_fma_f32 v[168:169], v[98:99], v[70:71], v[100:101] op_sel:[0,0,1] op_sel_hi:[1,0,0]
	v_pk_mul_f32 v[98:99], v[96:97], v[22:23] op_sel_hi:[1,0]
	v_mov_b32_e32 v22, v64
	v_pk_fma_f32 v[102:103], v[96:97], v[66:67], v[98:99] op_sel:[0,0,1] op_sel_hi:[1,1,0] neg_lo:[0,0,1] neg_hi:[0,0,1]
	v_pk_fma_f32 v[100:101], v[96:97], v[66:67], v[98:99] op_sel:[0,0,1] op_sel_hi:[1,0,0]
	ds_read2_b64 v[96:99], v153 offset0:120 offset1:183
	v_mov_b32_e32 v103, v101
	v_mov_b32_e32 v167, v169
	v_pk_add_f32 v[164:165], v[162:163], v[166:167]
	v_accvgpr_write_b32 a184, v64
	s_waitcnt lgkmcnt(0)
	v_pk_mul_f32 v[104:105], v[98:99], v[64:65] op_sel:[0,1]
	s_nop 0
	v_pk_fma_f32 v[116:117], v[98:99], v[22:23], v[104:105] op_sel:[0,0,1] op_sel_hi:[1,1,0] neg_lo:[0,0,1] neg_hi:[0,0,1]
	v_pk_fma_f32 v[98:99], v[98:99], v[64:65], v[104:105] op_sel:[0,0,1] op_sel_hi:[1,0,0]
	s_nop 0
	v_mov_b32_e32 v117, v99
	ds_read2_b64 v[98:101], v228 offset1:63
	s_waitcnt lgkmcnt(0)
	v_pk_add_f32 v[104:105], v[98:99], v[116:117]
	s_nop 0
	v_pk_add_f32 v[170:171], v[104:105], v[102:103]
	v_pk_add_f32 v[104:105], v[116:117], v[102:103]
	v_pk_add_f32 v[102:103], v[116:117], v[102:103] neg_lo:[0,1] neg_hi:[0,1]
	v_pk_fma_f32 v[98:99], v[104:105], 0.5, v[98:99] op_sel_hi:[1,0,1] neg_lo:[1,0,0] neg_hi:[1,0,0]
	v_pk_mul_f32 v[102:103], v[102:103], s[2:3] op_sel_hi:[1,0]
	v_pk_fma_f32 v[164:165], v[164:165], 0.5, v[100:101] op_sel_hi:[1,0,1] neg_lo:[1,0,0] neg_hi:[1,0,0]
	v_pk_add_f32 v[172:173], v[98:99], v[102:103] op_sel:[0,1] op_sel_hi:[1,0]
	v_pk_add_f32 v[98:99], v[98:99], v[102:103] op_sel:[0,1] op_sel_hi:[1,0] neg_lo:[0,1] neg_hi:[0,1]
	ds_read_b64 v[174:175], v228 offset:13104
	ds_read2_b64 v[102:105], v150 offset0:122 offset1:185
	ds_read2_b64 v[116:119], v154 offset0:124 offset1:187
	;; [unrolled: 1-line block ×3, first 2 shown]
	v_mov_b32_e32 v177, v99
	v_pk_add_f32 v[100:101], v[100:101], v[162:163]
	v_mov_b32_e32 v99, v173
	s_waitcnt lgkmcnt(0)
	; wave barrier
	s_waitcnt lgkmcnt(0)
	ds_write_b64 v0, v[98:99] offset:144
	v_pk_add_f32 v[98:99], v[100:101], v[166:167]
	v_pk_add_f32 v[100:101], v[162:163], v[166:167] neg_lo:[0,1] neg_hi:[0,1]
	v_mov_b32_e32 v176, v172
	v_pk_mul_f32 v[100:101], v[100:101], s[2:3] op_sel_hi:[1,0]
	ds_write2_b64 v0, v[170:171], v[176:177] offset1:9
	v_pk_add_f32 v[162:163], v[164:165], v[100:101] op_sel:[0,1] op_sel_hi:[1,0]
	v_pk_add_f32 v[100:101], v[164:165], v[100:101] op_sel:[0,1] op_sel_hi:[1,0] neg_lo:[0,1] neg_hi:[0,1]
	v_mul_u32_u24_e32 v0, 27, v18
	v_add_lshl_u32 v0, v0, v19, 3
	v_mov_b32_e32 v164, v162
	v_mov_b32_e32 v165, v101
	ds_write2_b64 v0, v[98:99], v[164:165] offset1:9
	v_mov_b32_e32 v101, v163
	v_pk_add_f32 v[98:99], v[120:121], v[156:157]
	ds_write_b64 v0, v[100:101] offset:144
	v_pk_add_f32 v[98:99], v[98:99], v[142:143]
	v_pk_add_f32 v[100:101], v[156:157], v[142:143]
	v_pk_add_f32 v[142:143], v[156:157], v[142:143] neg_lo:[0,1] neg_hi:[0,1]
	v_pk_fma_f32 v[100:101], v[100:101], 0.5, v[120:121] op_sel_hi:[1,0,1] neg_lo:[1,0,0] neg_hi:[1,0,0]
	v_pk_mul_f32 v[120:121], v[142:143], s[2:3] op_sel_hi:[1,0]
	v_accvgpr_write_b32 a149, v0
	v_pk_add_f32 v[142:143], v[100:101], v[120:121] op_sel:[0,1] op_sel_hi:[1,0]
	v_pk_add_f32 v[100:101], v[100:101], v[120:121] op_sel:[0,1] op_sel_hi:[1,0] neg_lo:[0,1] neg_hi:[0,1]
	v_mul_u32_u24_e32 v0, 27, v16
	v_add_lshl_u32 v0, v0, v17, 3
	v_mov_b32_e32 v120, v142
	v_mov_b32_e32 v121, v101
	ds_write2_b64 v0, v[98:99], v[120:121] offset1:9
	v_pk_add_f32 v[120:121], v[122:123], v[128:129]
	v_mov_b32_e32 v101, v143
	v_pk_add_f32 v[98:99], v[128:129], v[138:139]
	ds_write_b64 v0, v[100:101] offset:144
	v_pk_add_f32 v[100:101], v[120:121], v[138:139]
	v_pk_add_f32 v[120:121], v[128:129], v[138:139] neg_lo:[0,1] neg_hi:[0,1]
	v_pk_fma_f32 v[98:99], v[98:99], 0.5, v[122:123] op_sel_hi:[1,0,1] neg_lo:[1,0,0] neg_hi:[1,0,0]
	v_pk_mul_f32 v[120:121], v[120:121], s[2:3] op_sel_hi:[1,0]
	v_accvgpr_write_b32 a142, v0
	v_pk_add_f32 v[122:123], v[98:99], v[120:121] op_sel:[0,1] op_sel_hi:[1,0]
	v_pk_add_f32 v[98:99], v[98:99], v[120:121] op_sel:[0,1] op_sel_hi:[1,0] neg_lo:[0,1] neg_hi:[0,1]
	v_mul_u32_u24_e32 v0, 27, v2
	v_add_lshl_u32 v0, v0, v10, 3
	v_mov_b32_e32 v120, v122
	v_mov_b32_e32 v121, v99
	ds_write2_b64 v0, v[100:101], v[120:121] offset1:9
	v_pk_add_f32 v[10:11], v[124:125], v[106:107]
	v_pk_add_f32 v[100:101], v[124:125], v[106:107] neg_lo:[0,1] neg_hi:[0,1]
	v_pk_fma_f32 v[10:11], v[10:11], 0.5, v[116:117] op_sel_hi:[1,0,1] neg_lo:[1,0,0] neg_hi:[1,0,0]
	v_pk_mul_f32 v[100:101], v[100:101], s[2:3] op_sel_hi:[1,0]
	v_mov_b32_e32 v99, v123
	v_pk_add_f32 v[120:121], v[10:11], v[100:101] op_sel:[0,1] op_sel_hi:[1,0] neg_lo:[0,1] neg_hi:[0,1]
	v_pk_add_f32 v[10:11], v[10:11], v[100:101] op_sel:[0,1] op_sel_hi:[1,0]
	scratch_store_dword off, v0, off offset:72 ; 4-byte Folded Spill
	ds_write_b64 v0, v[98:99] offset:144
	v_pk_add_f32 v[98:99], v[116:117], v[124:125]
	v_mad_legacy_u16 v0, v5, 27, v15
	v_pk_add_f32 v[94:95], v[118:119], v[90:91]
	v_pk_add_f32 v[90:91], v[90:91], v[88:89] neg_lo:[0,1] neg_hi:[0,1]
	v_pk_add_f32 v[98:99], v[98:99], v[106:107]
	v_lshlrev_b32_e32 v0, 3, v0
	v_mov_b32_e32 v100, v10
	v_mov_b32_e32 v101, v121
	v_pk_fma_f32 v[92:93], v[92:93], 0.5, v[118:119] op_sel_hi:[1,0,1] neg_lo:[1,0,0] neg_hi:[1,0,0]
	v_pk_mul_f32 v[90:91], v[90:91], s[2:3] op_sel_hi:[1,0]
	v_mov_b32_e32 v121, v11
	ds_write2_b64 v0, v[98:99], v[100:101] offset1:9
	v_pk_add_f32 v[98:99], v[92:93], v[90:91] op_sel:[0,1] op_sel_hi:[1,0] neg_lo:[0,1] neg_hi:[0,1]
	v_pk_add_f32 v[90:91], v[92:93], v[90:91] op_sel:[0,1] op_sel_hi:[1,0]
	v_accvgpr_write_b32 a19, v0
	ds_write_b64 v0, v[120:121] offset:144
	v_mad_legacy_u16 v0, v6, 27, v9
	v_pk_add_f32 v[10:11], v[94:95], v[88:89]
	v_lshlrev_b32_e32 v0, 3, v0
	v_mov_b32_e32 v88, v90
	v_mov_b32_e32 v89, v99
	ds_write2_b64 v0, v[10:11], v[88:89] offset1:9
	v_pk_add_f32 v[10:11], v[80:81], v[82:83]
	v_mov_b32_e32 v99, v91
	v_pk_fma_f32 v[10:11], v[10:11], 0.5, v[102:103] op_sel_hi:[1,0,1] neg_lo:[1,0,0] neg_hi:[1,0,0]
	v_accvgpr_write_b32 a143, v0
	ds_write_b64 v0, v[98:99] offset:144
	v_mad_legacy_u16 v0, v12, 27, v13
	v_pk_add_f32 v[86:87], v[10:11], v[84:85] op_sel:[0,1] op_sel_hi:[1,0] neg_lo:[0,1] neg_hi:[0,1]
	v_pk_add_f32 v[10:11], v[10:11], v[84:85] op_sel:[0,1] op_sel_hi:[1,0]
	v_pk_add_f32 v[80:81], v[102:103], v[80:81]
	v_lshlrev_b32_e32 v5, 3, v0
	v_pk_add_f32 v[0:1], v[78:79], v[76:77]
	v_pk_add_f32 v[2:3], v[104:105], v[78:79]
	v_pk_add_f32 v[78:79], v[78:79], v[76:77] neg_lo:[0,1] neg_hi:[0,1]
	v_pk_add_f32 v[80:81], v[80:81], v[82:83]
	v_mov_b32_e32 v82, v10
	v_mov_b32_e32 v83, v87
	v_pk_fma_f32 v[0:1], v[0:1], 0.5, v[104:105] op_sel_hi:[1,0,1] neg_lo:[1,0,0] neg_hi:[1,0,0]
	v_pk_mul_f32 v[78:79], v[78:79], s[2:3] op_sel_hi:[1,0]
	v_mov_b32_e32 v87, v11
	ds_write2_b64 v5, v[80:81], v[82:83] offset1:9
	v_pk_add_f32 v[80:81], v[0:1], v[78:79] op_sel:[0,1] op_sel_hi:[1,0] neg_lo:[0,1] neg_hi:[0,1]
	v_pk_add_f32 v[0:1], v[0:1], v[78:79] op_sel:[0,1] op_sel_hi:[1,0]
	v_accvgpr_write_b32 a148, v5
	ds_write_b64 v5, v[86:87] offset:144
	v_mad_legacy_u16 v5, v8, 27, v14
	v_pk_add_f32 v[2:3], v[2:3], v[76:77]
	v_lshlrev_b32_e32 v5, 3, v5
	v_mov_b32_e32 v8, v0
	v_mov_b32_e32 v9, v81
	;; [unrolled: 1-line block ×3, first 2 shown]
	ds_write2_b64 v5, v[2:3], v[8:9] offset1:9
	v_pk_mul_f32 v[2:3], v[174:175], v[0:1] op_sel_hi:[1,0]
	v_pk_add_f32 v[10:11], v[96:97], v[72:73]
	v_pk_fma_f32 v[8:9], v[174:175], v[50:51], v[2:3] op_sel:[0,0,1] op_sel_hi:[1,1,0] neg_lo:[0,0,1] neg_hi:[0,0,1]
	v_pk_fma_f32 v[2:3], v[174:175], v[50:51], v[2:3] op_sel:[0,0,1] op_sel_hi:[1,0,0]
	v_mov_b32_e32 v81, v1
	v_mov_b32_e32 v9, v3
	v_pk_add_f32 v[2:3], v[72:73], v[8:9]
	v_pk_add_f32 v[72:73], v[72:73], v[8:9] neg_lo:[0,1] neg_hi:[0,1]
	v_pk_fma_f32 v[2:3], v[2:3], 0.5, v[96:97] op_sel_hi:[1,0,1] neg_lo:[1,0,0] neg_hi:[1,0,0]
	v_pk_mul_f32 v[72:73], v[72:73], s[2:3] op_sel_hi:[1,0]
	v_accvgpr_write_b32 a154, v5
	v_pk_add_f32 v[74:75], v[2:3], v[72:73] op_sel:[0,1] op_sel_hi:[1,0] neg_lo:[0,1] neg_hi:[0,1]
	v_pk_add_f32 v[2:3], v[2:3], v[72:73] op_sel:[0,1] op_sel_hi:[1,0]
	ds_write_b64 v5, v[80:81] offset:144
	v_pk_add_f32 v[0:1], v[10:11], v[8:9]
	v_lshlrev_b32_e32 v6, 3, v4
	v_mov_b32_e32 v4, v2
	v_mov_b32_e32 v5, v75
	s_movk_i32 s3, 0x2f69
	ds_write2_b64 v6, v[0:1], v[4:5] offset1:9
	v_mul_u32_u24_sdwa v0, v134, s3 dst_sel:DWORD dst_unused:UNUSED_PAD src0_sel:WORD_0 src1_sel:DWORD
	v_sub_u16_sdwa v1, v134, v0 dst_sel:DWORD dst_unused:UNUSED_PAD src0_sel:DWORD src1_sel:WORD_1
	v_lshrrev_b16_e32 v1, 1, v1
	v_add_u16_sdwa v0, v1, v0 dst_sel:DWORD dst_unused:UNUSED_PAD src0_sel:DWORD src1_sel:WORD_1
	v_mul_u32_u24_sdwa v1, v136, s3 dst_sel:DWORD dst_unused:UNUSED_PAD src0_sel:WORD_0 src1_sel:DWORD
	v_sub_u16_sdwa v2, v136, v1 dst_sel:DWORD dst_unused:UNUSED_PAD src0_sel:DWORD src1_sel:WORD_1
	v_lshrrev_b16_e32 v2, 1, v2
	v_add_u16_sdwa v2, v2, v1 dst_sel:DWORD dst_unused:UNUSED_PAD src0_sel:DWORD src1_sel:WORD_1
	v_mul_u32_u24_sdwa v1, v132, s3 dst_sel:DWORD dst_unused:UNUSED_PAD src0_sel:WORD_0 src1_sel:DWORD
	v_lshrrev_b16_e32 v12, 4, v0
	v_mov_b32_e32 v75, v3
	v_sub_u16_sdwa v3, v132, v1 dst_sel:DWORD dst_unused:UNUSED_PAD src0_sel:DWORD src1_sel:WORD_1
	v_mul_lo_u16_e32 v0, 27, v12
	v_lshrrev_b16_e32 v3, 1, v3
	v_sub_u16_e32 v13, v134, v0
	v_add_u16_sdwa v8, v3, v1 dst_sel:DWORD dst_unused:UNUSED_PAD src0_sel:DWORD src1_sel:WORD_1
	v_lshlrev_b16_e32 v0, 4, v13
	v_mov_b32_e32 v1, v215
	v_lshrrev_b16_e32 v14, 4, v2
	v_lshl_add_u64 v[4:5], s[10:11], 0, v[0:1]
	v_mul_lo_u16_e32 v0, 27, v14
	v_sub_u16_e32 v15, v136, v0
	v_lshlrev_b16_e32 v0, 4, v15
	v_lshl_add_u64 v[0:1], s[10:11], 0, v[0:1]
	ds_write_b64 v6, v[74:75] offset:144
	s_waitcnt lgkmcnt(0)
	; wave barrier
	s_waitcnt lgkmcnt(0)
	global_load_dwordx4 v[80:83], v[0:1], off offset:192
	ds_read2_b64 v[0:3], v151 offset0:112 offset1:175
	v_accvgpr_write_b32 a155, v6
	v_lshrrev_b16_e32 v16, 4, v8
	s_waitcnt vmcnt(0)
	v_mov_b32_e32 v10, v80
	s_waitcnt lgkmcnt(0)
	v_pk_mul_f32 v[6:7], v[2:3], v[80:81] op_sel:[0,1]
	v_accvgpr_write_b32 a188, v80
	v_pk_fma_f32 v[116:117], v[2:3], v[10:11], v[6:7] op_sel:[0,0,1] op_sel_hi:[1,1,0] neg_lo:[0,0,1] neg_hi:[0,0,1]
	v_pk_fma_f32 v[118:119], v[2:3], v[80:81], v[6:7] op_sel:[0,0,1] op_sel_hi:[1,0,0]
	v_mul_lo_u16_e32 v2, 27, v16
	v_sub_u16_e32 v17, v132, v2
	v_lshlrev_b16_e32 v2, 4, v17
	v_mov_b32_e32 v3, v215
	v_lshl_add_u64 v[2:3], s[10:11], 0, v[2:3]
	global_load_dwordx4 v[76:79], v[4:5], off offset:192
	global_load_dwordx4 v[72:75], v[2:3], off offset:192
	ds_read2_b64 v[92:95], v149 offset0:114 offset1:177
	v_mov_b32_e32 v7, v215
	v_mov_b32_e32 v117, v119
	s_waitcnt vmcnt(1)
	v_mov_b32_e32 v4, v76
	v_pk_mul_f32 v[2:3], v[0:1], v[76:77] op_sel:[0,1]
	v_accvgpr_write_b32 a190, v76
	v_pk_fma_f32 v[122:123], v[0:1], v[4:5], v[2:3] op_sel:[0,0,1] op_sel_hi:[1,1,0] neg_lo:[0,0,1] neg_hi:[0,0,1]
	v_pk_fma_f32 v[124:125], v[0:1], v[76:77], v[2:3] op_sel:[0,0,1] op_sel_hi:[1,0,0]
	ds_read2_b64 v[0:3], v155 offset0:104 offset1:167
	v_mov_b32_e32 v4, v79
	v_mov_b32_e32 v123, v125
	v_accvgpr_write_b32 a192, v79
	s_waitcnt vmcnt(0)
	v_accvgpr_write_b32 a186, v75
	s_waitcnt lgkmcnt(0)
	v_pk_mul_f32 v[4:5], v[2:3], v[4:5] op_sel_hi:[1,0]
	v_accvgpr_write_b32 a196, v72
	v_pk_fma_f32 v[120:121], v[2:3], v[78:79], v[4:5] op_sel:[0,0,1] op_sel_hi:[1,1,0] neg_lo:[0,0,1] neg_hi:[0,0,1]
	v_pk_fma_f32 v[126:127], v[2:3], v[78:79], v[4:5] op_sel:[0,0,1] op_sel_hi:[1,0,0]
	v_mov_b32_e32 v2, v75
	v_pk_mul_f32 v[2:3], v[0:1], v[2:3] op_sel_hi:[1,0]
	v_mov_b32_e32 v121, v127
	v_pk_fma_f32 v[128:129], v[0:1], v[74:75], v[2:3] op_sel:[0,0,1] op_sel_hi:[1,1,0] neg_lo:[0,0,1] neg_hi:[0,0,1]
	v_pk_fma_f32 v[130:131], v[0:1], v[74:75], v[2:3] op_sel:[0,0,1] op_sel_hi:[1,0,0]
	v_mul_u32_u24_sdwa v0, v114, s3 dst_sel:DWORD dst_unused:UNUSED_PAD src0_sel:WORD_0 src1_sel:DWORD
	v_sub_u16_sdwa v1, v114, v0 dst_sel:DWORD dst_unused:UNUSED_PAD src0_sel:DWORD src1_sel:WORD_1
	v_lshrrev_b16_e32 v1, 1, v1
	v_add_u16_sdwa v0, v1, v0 dst_sel:DWORD dst_unused:UNUSED_PAD src0_sel:DWORD src1_sel:WORD_1
	v_mul_u32_u24_sdwa v1, v112, s3 dst_sel:DWORD dst_unused:UNUSED_PAD src0_sel:WORD_0 src1_sel:DWORD
	v_lshrrev_b16_e32 v18, 4, v0
	v_sub_u16_sdwa v2, v112, v1 dst_sel:DWORD dst_unused:UNUSED_PAD src0_sel:DWORD src1_sel:WORD_1
	v_mul_lo_u16_e32 v0, 27, v18
	v_lshrrev_b16_e32 v2, 1, v2
	v_sub_u16_e32 v19, v114, v0
	v_add_u16_sdwa v6, v2, v1 dst_sel:DWORD dst_unused:UNUSED_PAD src0_sel:DWORD src1_sel:WORD_1
	v_lshlrev_b16_e32 v0, 4, v19
	v_mov_b32_e32 v1, v215
	v_lshl_add_u64 v[4:5], s[10:11], 0, v[0:1]
	v_mov_b32_e32 v0, v72
	v_pk_mul_f32 v[2:3], v[94:95], v[72:73] op_sel:[0,1]
	v_mov_b32_e32 v129, v131
	v_pk_fma_f32 v[0:1], v[94:95], v[0:1], v[2:3] op_sel:[0,0,1] op_sel_hi:[1,1,0] neg_lo:[0,0,1] neg_hi:[0,0,1]
	v_pk_fma_f32 v[2:3], v[94:95], v[72:73], v[2:3] op_sel:[0,0,1] op_sel_hi:[1,0,0]
	v_lshrrev_b16_e32 v1, 4, v6
	v_mul_lo_u16_e32 v2, 27, v1
	v_sub_u16_e32 v2, v112, v2
	v_lshlrev_b16_e32 v6, 4, v2
	v_lshl_add_u64 v[6:7], s[10:11], 0, v[6:7]
	global_load_dwordx4 v[88:91], v[4:5], off offset:192
	global_load_dwordx4 v[84:87], v[6:7], off offset:192
	ds_read2_b64 v[100:103], v109 offset0:116 offset1:179
	v_mov_b32_e32 v72, v83
	s_waitcnt vmcnt(1)
	v_mov_b32_e32 v6, v88
	v_pk_mul_f32 v[4:5], v[92:93], v[88:89] op_sel:[0,1]
	s_waitcnt vmcnt(0)
	v_mov_b32_e32 v10, v84
	v_pk_fma_f32 v[140:141], v[92:93], v[6:7], v[4:5] op_sel:[0,0,1] op_sel_hi:[1,1,0] neg_lo:[0,0,1] neg_hi:[0,0,1]
	v_pk_fma_f32 v[142:143], v[92:93], v[88:89], v[4:5] op_sel:[0,0,1] op_sel_hi:[1,0,0]
	ds_read2_b64 v[92:95], v148 offset0:106 offset1:169
	v_mov_b32_e32 v4, v91
	v_mov_b32_e32 v141, v143
	v_accvgpr_write_b32 a198, v88
	v_accvgpr_write_b32 a200, v91
	s_waitcnt lgkmcnt(0)
	v_pk_mul_f32 v[4:5], v[94:95], v[4:5] op_sel_hi:[1,0]
	v_accvgpr_write_b32 a194, v87
	v_pk_fma_f32 v[138:139], v[94:95], v[90:91], v[4:5] op_sel:[0,0,1] op_sel_hi:[1,1,0] neg_lo:[0,0,1] neg_hi:[0,0,1]
	v_pk_fma_f32 v[144:145], v[94:95], v[90:91], v[4:5] op_sel:[0,0,1] op_sel_hi:[1,0,0]
	v_mov_b32_e32 v4, v87
	v_pk_mul_f32 v[4:5], v[92:93], v[4:5] op_sel_hi:[1,0]
	v_mov_b32_e32 v139, v145
	v_pk_fma_f32 v[6:7], v[92:93], v[86:87], v[4:5] op_sel:[0,0,1] op_sel_hi:[1,1,0] neg_lo:[0,0,1] neg_hi:[0,0,1]
	v_pk_fma_f32 v[4:5], v[92:93], v[86:87], v[4:5] op_sel:[0,0,1] op_sel_hi:[1,0,0]
	v_accvgpr_write_b32 a202, v84
	v_mov_b32_e32 v4, 19
	v_mul_lo_u16_sdwa v7, v160, v4 dst_sel:DWORD dst_unused:UNUSED_PAD src0_sel:BYTE_0 src1_sel:DWORD
	v_lshrrev_b16_e32 v7, 9, v7
	v_mul_lo_u16_e32 v8, 27, v7
	v_sub_u16_e32 v8, v160, v8
	v_and_b32_e32 v20, 0xff, v8
	v_pk_mul_f32 v[8:9], v[102:103], v[84:85] op_sel:[0,1]
	v_lshlrev_b32_e32 v21, 4, v20
	v_pk_fma_f32 v[10:11], v[102:103], v[10:11], v[8:9] op_sel:[0,0,1] op_sel_hi:[1,1,0] neg_lo:[0,0,1] neg_hi:[0,0,1]
	v_pk_fma_f32 v[8:9], v[102:103], v[84:85], v[8:9] op_sel:[0,0,1] op_sel_hi:[1,0,0]
	s_nop 0
	v_mul_lo_u16_sdwa v8, v108, v4 dst_sel:DWORD dst_unused:UNUSED_PAD src0_sel:BYTE_0 src1_sel:DWORD
	v_lshrrev_b16_e32 v8, 9, v8
	v_mul_lo_u16_e32 v11, 27, v8
	v_sub_u16_e32 v11, v108, v11
	v_and_b32_e32 v11, 0xff, v11
	v_lshlrev_b32_e32 v22, 4, v11
	global_load_dwordx4 v[96:99], v21, s[10:11] offset:192
	global_load_dwordx4 v[92:95], v22, s[10:11] offset:192
	ds_read2_b64 v[156:159], v146 offset0:118 offset1:181
	v_mul_lo_u16_sdwa v21, v110, v4 dst_sel:DWORD dst_unused:UNUSED_PAD src0_sel:BYTE_0 src1_sel:DWORD
	v_lshrrev_b16_e32 v21, 9, v21
	v_mul_lo_u16_sdwa v4, v252, v4 dst_sel:DWORD dst_unused:UNUSED_PAD src0_sel:BYTE_0 src1_sel:DWORD
	v_lshrrev_b16_e32 v4, 9, v4
	s_waitcnt vmcnt(1)
	v_mov_b32_e32 v22, v96
	v_pk_mul_f32 v[102:103], v[100:101], v[96:97] op_sel:[0,1]
	s_waitcnt vmcnt(0)
	v_mov_b32_e32 v24, v92
	v_pk_fma_f32 v[178:179], v[100:101], v[22:23], v[102:103] op_sel:[0,0,1] op_sel_hi:[1,1,0] neg_lo:[0,0,1] neg_hi:[0,0,1]
	v_pk_fma_f32 v[180:181], v[100:101], v[96:97], v[102:103] op_sel:[0,0,1] op_sel_hi:[1,0,0]
	ds_read2_b64 v[100:103], v152 offset0:108 offset1:171
	v_mov_b32_e32 v22, v99
	v_mov_b32_e32 v179, v181
	v_accvgpr_write_b32 a206, v96
	v_accvgpr_write_b32 a208, v99
	s_waitcnt lgkmcnt(0)
	v_pk_mul_f32 v[104:105], v[102:103], v[22:23] op_sel_hi:[1,0]
	v_mov_b32_e32 v22, v95
	v_pk_fma_f32 v[182:183], v[102:103], v[98:99], v[104:105] op_sel:[0,0,1] op_sel_hi:[1,1,0] neg_lo:[0,0,1] neg_hi:[0,0,1]
	v_pk_fma_f32 v[184:185], v[102:103], v[98:99], v[104:105] op_sel:[0,0,1] op_sel_hi:[1,0,0]
	v_pk_mul_f32 v[102:103], v[100:101], v[22:23] op_sel_hi:[1,0]
	v_mul_lo_u16_e32 v22, 27, v21
	v_sub_u16_e32 v22, v110, v22
	v_mul_lo_u16_e32 v23, 27, v4
	v_pk_fma_f32 v[186:187], v[100:101], v[94:95], v[102:103] op_sel:[0,0,1] op_sel_hi:[1,1,0] neg_lo:[0,0,1] neg_hi:[0,0,1]
	v_pk_fma_f32 v[188:189], v[100:101], v[94:95], v[102:103] op_sel:[0,0,1] op_sel_hi:[1,0,0]
	v_and_b32_e32 v22, 0xff, v22
	v_pk_mul_f32 v[100:101], v[158:159], v[92:93] op_sel:[0,1]
	v_sub_u16_e32 v23, v252, v23
	v_pk_fma_f32 v[190:191], v[158:159], v[24:25], v[100:101] op_sel:[0,0,1] op_sel_hi:[1,1,0] neg_lo:[0,0,1] neg_hi:[0,0,1]
	v_and_b32_e32 v23, 0xff, v23
	v_lshlrev_b32_e32 v24, 4, v22
	v_pk_fma_f32 v[192:193], v[158:159], v[92:93], v[100:101] op_sel:[0,0,1] op_sel_hi:[1,0,0]
	v_lshlrev_b32_e32 v25, 4, v23
	global_load_dwordx4 v[104:107], v24, s[10:11] offset:192
	global_load_dwordx4 v[100:103], v25, s[10:11] offset:192
	v_mul_lo_u16_e32 v4, 0x51, v4
	v_and_b32_e32 v4, 0xff, v4
	v_add_lshl_u32 v4, v4, v23, 3
	v_accvgpr_write_b32 a179, v4
	v_mov_b32_e32 v191, v193
	v_mov_b32_e32 v187, v189
	;; [unrolled: 1-line block ×3, first 2 shown]
	v_accvgpr_write_b32 a204, v95
	v_accvgpr_write_b32 a210, v92
	s_waitcnt vmcnt(1)
	v_mov_b32_e32 v24, v104
	v_pk_mul_f32 v[158:159], v[156:157], v[104:105] op_sel:[0,1]
	v_accvgpr_write_b32 a214, v104
	v_pk_fma_f32 v[194:195], v[156:157], v[24:25], v[158:159] op_sel:[0,0,1] op_sel_hi:[1,1,0] neg_lo:[0,0,1] neg_hi:[0,0,1]
	v_pk_fma_f32 v[196:197], v[156:157], v[104:105], v[158:159] op_sel:[0,0,1] op_sel_hi:[1,0,0]
	ds_read2_b64 v[156:159], v147 offset0:110 offset1:173
	v_mov_b32_e32 v24, v107
	v_mov_b32_e32 v195, v197
	v_accvgpr_write_b32 a216, v107
	s_waitcnt vmcnt(0)
	v_accvgpr_write_b32 a212, v103
	s_waitcnt lgkmcnt(0)
	v_pk_mul_f32 v[162:163], v[158:159], v[24:25] op_sel_hi:[1,0]
	v_mov_b32_e32 v24, v103
	v_pk_fma_f32 v[198:199], v[158:159], v[106:107], v[162:163] op_sel:[0,0,1] op_sel_hi:[1,1,0] neg_lo:[0,0,1] neg_hi:[0,0,1]
	v_pk_fma_f32 v[200:201], v[158:159], v[106:107], v[162:163] op_sel:[0,0,1] op_sel_hi:[1,0,0]
	v_pk_mul_f32 v[158:159], v[156:157], v[24:25] op_sel_hi:[1,0]
	v_mov_b32_e32 v24, v100
	v_pk_fma_f32 v[166:167], v[156:157], v[102:103], v[158:159] op_sel:[0,0,1] op_sel_hi:[1,1,0] neg_lo:[0,0,1] neg_hi:[0,0,1]
	v_pk_fma_f32 v[162:163], v[156:157], v[102:103], v[158:159] op_sel:[0,0,1] op_sel_hi:[1,0,0]
	ds_read2_b64 v[156:159], v153 offset0:120 offset1:183
	v_mov_b32_e32 v167, v163
	v_mov_b32_e32 v199, v201
	v_accvgpr_write_b32 a218, v100
	s_waitcnt lgkmcnt(0)
	v_pk_mul_f32 v[164:165], v[158:159], v[100:101] op_sel:[0,1]
	s_nop 0
	v_pk_fma_f32 v[168:169], v[158:159], v[24:25], v[164:165] op_sel:[0,0,1] op_sel_hi:[1,1,0] neg_lo:[0,0,1] neg_hi:[0,0,1]
	v_pk_fma_f32 v[158:159], v[158:159], v[100:101], v[164:165] op_sel:[0,0,1] op_sel_hi:[1,0,0]
	ds_read2_b64 v[162:165], v228 offset1:63
	v_mov_b32_e32 v169, v159
	v_pk_add_f32 v[170:171], v[168:169], v[166:167]
	s_waitcnt lgkmcnt(0)
	v_pk_add_f32 v[158:159], v[162:163], v[168:169]
	s_nop 0
	v_pk_add_f32 v[158:159], v[158:159], v[166:167]
	v_pk_add_f32 v[166:167], v[168:169], v[166:167] neg_lo:[0,1] neg_hi:[0,1]
	v_pk_fma_f32 v[162:163], v[170:171], 0.5, v[162:163] op_sel_hi:[1,0,1] neg_lo:[1,0,0] neg_hi:[1,0,0]
	v_pk_mul_f32 v[166:167], v[166:167], s[2:3] op_sel_hi:[1,0]
	s_nop 0
	v_pk_add_f32 v[202:203], v[162:163], v[166:167] op_sel:[0,1] op_sel_hi:[1,0]
	v_pk_add_f32 v[162:163], v[162:163], v[166:167] op_sel:[0,1] op_sel_hi:[1,0] neg_lo:[0,1] neg_hi:[0,1]
	v_mov_b32_e32 v206, v202
	v_mov_b32_e32 v207, v163
	ds_read_b64 v[204:205], v228 offset:13104
	ds_read2_b64 v[166:169], v150 offset0:122 offset1:185
	ds_read2_b64 v[170:173], v154 offset0:124 offset1:187
	;; [unrolled: 1-line block ×3, first 2 shown]
	s_waitcnt lgkmcnt(0)
	; wave barrier
	s_waitcnt lgkmcnt(0)
	ds_write2_b64 v4, v[158:159], v[206:207] offset1:27
	v_pk_add_f32 v[158:159], v[194:195], v[198:199]
	v_mov_b32_e32 v163, v203
	v_pk_fma_f32 v[158:159], v[158:159], 0.5, v[164:165] op_sel_hi:[1,0,1] neg_lo:[1,0,0] neg_hi:[1,0,0]
	v_pk_add_f32 v[164:165], v[164:165], v[194:195]
	ds_write_b64 v4, v[162:163] offset:432
	v_pk_add_f32 v[162:163], v[164:165], v[198:199]
	v_pk_add_f32 v[164:165], v[194:195], v[198:199] neg_lo:[0,1] neg_hi:[0,1]
	v_mul_u32_u24_e32 v4, 0x51, v21
	v_pk_mul_f32 v[164:165], v[164:165], s[2:3] op_sel_hi:[1,0]
	v_add_lshl_u32 v4, v4, v22, 3
	v_pk_add_f32 v[194:195], v[158:159], v[164:165] op_sel:[0,1] op_sel_hi:[1,0]
	v_pk_add_f32 v[158:159], v[158:159], v[164:165] op_sel:[0,1] op_sel_hi:[1,0] neg_lo:[0,1] neg_hi:[0,1]
	v_mov_b32_e32 v164, v194
	v_mov_b32_e32 v165, v159
	ds_write2_b64 v4, v[162:163], v[164:165] offset1:27
	v_pk_add_f32 v[162:163], v[190:191], v[186:187]
	v_pk_add_f32 v[164:165], v[190:191], v[186:187] neg_lo:[0,1] neg_hi:[0,1]
	v_mov_b32_e32 v159, v195
	v_pk_fma_f32 v[162:163], v[162:163], 0.5, v[174:175] op_sel_hi:[1,0,1] neg_lo:[1,0,0] neg_hi:[1,0,0]
	v_pk_mul_f32 v[164:165], v[164:165], s[2:3] op_sel_hi:[1,0]
	v_accvgpr_write_b32 a220, v4
	ds_write_b64 v4, v[158:159] offset:432
	v_pk_add_f32 v[158:159], v[174:175], v[190:191]
	v_pk_add_f32 v[174:175], v[162:163], v[164:165] op_sel:[0,1] op_sel_hi:[1,0]
	v_pk_add_f32 v[162:163], v[162:163], v[164:165] op_sel:[0,1] op_sel_hi:[1,0] neg_lo:[0,1] neg_hi:[0,1]
	v_mul_u32_u24_e32 v4, 0x51, v8
	v_pk_add_f32 v[158:159], v[158:159], v[186:187]
	v_add_lshl_u32 v4, v4, v11, 3
	v_mov_b32_e32 v164, v174
	v_mov_b32_e32 v165, v163
	ds_write2_b64 v4, v[158:159], v[164:165] offset1:27
	v_pk_add_f32 v[164:165], v[176:177], v[178:179]
	v_mov_b32_e32 v163, v175
	v_pk_add_f32 v[158:159], v[178:179], v[182:183]
	ds_write_b64 v4, v[162:163] offset:432
	v_pk_add_f32 v[162:163], v[164:165], v[182:183]
	v_pk_add_f32 v[164:165], v[178:179], v[182:183] neg_lo:[0,1] neg_hi:[0,1]
	v_pk_fma_f32 v[158:159], v[158:159], 0.5, v[176:177] op_sel_hi:[1,0,1] neg_lo:[1,0,0] neg_hi:[1,0,0]
	v_accvgpr_write_b32 a221, v4
	v_pk_mul_f32 v[164:165], v[164:165], s[2:3] op_sel_hi:[1,0]
	v_mul_u32_u24_e32 v4, 0x51, v7
	v_mov_b32_e32 v11, v9
	v_mov_b32_e32 v7, v5
	v_pk_add_f32 v[174:175], v[158:159], v[164:165] op_sel:[0,1] op_sel_hi:[1,0]
	v_pk_add_f32 v[158:159], v[158:159], v[164:165] op_sel:[0,1] op_sel_hi:[1,0] neg_lo:[0,1] neg_hi:[0,1]
	v_add_lshl_u32 v20, v4, v20, 3
	v_pk_add_f32 v[4:5], v[10:11], v[6:7]
	v_pk_add_f32 v[8:9], v[10:11], v[6:7] neg_lo:[0,1] neg_hi:[0,1]
	v_mov_b32_e32 v164, v174
	v_mov_b32_e32 v165, v159
	v_pk_fma_f32 v[4:5], v[4:5], 0.5, v[170:171] op_sel_hi:[1,0,1] neg_lo:[1,0,0] neg_hi:[1,0,0]
	v_pk_mul_f32 v[8:9], v[8:9], s[2:3] op_sel_hi:[1,0]
	s_movk_i32 s3, 0x51
	ds_write2_b64 v20, v[162:163], v[164:165] offset1:27
	v_pk_add_f32 v[162:163], v[4:5], v[8:9] op_sel:[0,1] op_sel_hi:[1,0] neg_lo:[0,1] neg_hi:[0,1]
	v_pk_add_f32 v[4:5], v[4:5], v[8:9] op_sel:[0,1] op_sel_hi:[1,0]
	v_pk_add_f32 v[8:9], v[170:171], v[10:11]
	v_mad_legacy_u16 v1, v1, s3, v2
	v_mov_b32_e32 v159, v175
	v_pk_add_f32 v[6:7], v[8:9], v[6:7]
	v_lshlrev_b32_e32 v1, 3, v1
	v_mov_b32_e32 v8, v4
	v_mov_b32_e32 v9, v163
	ds_write_b64 v20, v[158:159] offset:432
	ds_write2_b64 v1, v[6:7], v[8:9] offset1:27
	v_pk_add_f32 v[6:7], v[140:141], v[138:139]
	v_pk_add_f32 v[10:11], v[140:141], v[138:139] neg_lo:[0,1] neg_hi:[0,1]
	v_pk_fma_f32 v[6:7], v[6:7], 0.5, v[172:173] op_sel_hi:[1,0,1] neg_lo:[1,0,0] neg_hi:[1,0,0]
	v_pk_mul_f32 v[10:11], v[10:11], s[2:3] op_sel_hi:[1,0]
	v_mov_b32_e32 v163, v5
	v_pk_add_f32 v[8:9], v[172:173], v[140:141]
	v_pk_add_f32 v[140:141], v[6:7], v[10:11] op_sel:[0,1] op_sel_hi:[1,0] neg_lo:[0,1] neg_hi:[0,1]
	v_pk_add_f32 v[6:7], v[6:7], v[10:11] op_sel:[0,1] op_sel_hi:[1,0]
	v_accvgpr_write_b32 a223, v1
	ds_write_b64 v1, v[162:163] offset:432
	v_mad_legacy_u16 v1, v18, s3, v19
	v_pk_add_f32 v[4:5], v[8:9], v[138:139]
	v_lshlrev_b32_e32 v10, 3, v1
	v_mov_b32_e32 v8, v6
	v_mov_b32_e32 v9, v141
	;; [unrolled: 1-line block ×3, first 2 shown]
	ds_write2_b64 v10, v[4:5], v[8:9] offset1:27
	v_pk_add_f32 v[2:3], v[0:1], v[128:129]
	v_pk_add_f32 v[4:5], v[0:1], v[128:129] neg_lo:[0,1] neg_hi:[0,1]
	v_pk_fma_f32 v[2:3], v[2:3], 0.5, v[166:167] op_sel_hi:[1,0,1] neg_lo:[1,0,0] neg_hi:[1,0,0]
	v_pk_mul_f32 v[4:5], v[4:5], s[2:3] op_sel_hi:[1,0]
	v_pk_add_f32 v[0:1], v[166:167], v[0:1]
	v_pk_add_f32 v[8:9], v[2:3], v[4:5] op_sel:[0,1] op_sel_hi:[1,0] neg_lo:[0,1] neg_hi:[0,1]
	v_pk_add_f32 v[2:3], v[2:3], v[4:5] op_sel:[0,1] op_sel_hi:[1,0]
	v_mad_legacy_u16 v4, v16, s3, v17
	v_mov_b32_e32 v141, v7
	v_pk_add_f32 v[0:1], v[0:1], v[128:129]
	v_lshlrev_b32_e32 v16, 3, v4
	v_mov_b32_e32 v4, v2
	v_mov_b32_e32 v5, v9
	ds_write_b64 v10, v[140:141] offset:432
	ds_write2_b64 v16, v[0:1], v[4:5] offset1:27
	v_pk_add_f32 v[0:1], v[122:123], v[120:121]
	v_pk_add_f32 v[6:7], v[122:123], v[120:121] neg_lo:[0,1] neg_hi:[0,1]
	v_pk_fma_f32 v[0:1], v[0:1], 0.5, v[168:169] op_sel_hi:[1,0,1] neg_lo:[1,0,0] neg_hi:[1,0,0]
	v_pk_add_f32 v[4:5], v[168:169], v[122:123]
	v_pk_mul_f32 v[6:7], v[6:7], s[2:3] op_sel_hi:[1,0]
	v_accvgpr_write_b32 a226, v10
	v_pk_add_f32 v[10:11], v[0:1], v[6:7] op_sel:[0,1] op_sel_hi:[1,0] neg_lo:[0,1] neg_hi:[0,1]
	v_pk_add_f32 v[0:1], v[0:1], v[6:7] op_sel:[0,1] op_sel_hi:[1,0]
	v_mov_b32_e32 v9, v3
	v_pk_add_f32 v[2:3], v[4:5], v[120:121]
	v_mad_legacy_u16 v4, v12, s3, v13
	v_lshlrev_b32_e32 v12, 3, v4
	v_mov_b32_e32 v4, v0
	v_mov_b32_e32 v5, v11
	;; [unrolled: 1-line block ×3, first 2 shown]
	ds_write_b64 v16, v[8:9] offset:432
	ds_write2_b64 v12, v[2:3], v[4:5] offset1:27
	v_pk_mul_f32 v[2:3], v[204:205], v[0:1] op_sel_hi:[1,0]
	v_pk_add_f32 v[6:7], v[156:157], v[116:117]
	v_pk_fma_f32 v[4:5], v[204:205], v[82:83], v[2:3] op_sel:[0,0,1] op_sel_hi:[1,1,0] neg_lo:[0,0,1] neg_hi:[0,0,1]
	v_pk_fma_f32 v[2:3], v[204:205], v[82:83], v[2:3] op_sel:[0,0,1] op_sel_hi:[1,0,0]
	v_mov_b32_e32 v11, v1
	v_mov_b32_e32 v5, v3
	v_pk_add_f32 v[2:3], v[116:117], v[4:5]
	v_pk_add_f32 v[8:9], v[116:117], v[4:5] neg_lo:[0,1] neg_hi:[0,1]
	v_pk_fma_f32 v[2:3], v[2:3], 0.5, v[156:157] op_sel_hi:[1,0,1] neg_lo:[1,0,0] neg_hi:[1,0,0]
	v_pk_mul_f32 v[8:9], v[8:9], s[2:3] op_sel_hi:[1,0]
	v_pk_add_f32 v[0:1], v[6:7], v[4:5]
	v_pk_add_f32 v[116:117], v[2:3], v[8:9] op_sel:[0,1] op_sel_hi:[1,0] neg_lo:[0,1] neg_hi:[0,1]
	v_pk_add_f32 v[2:3], v[2:3], v[8:9] op_sel:[0,1] op_sel_hi:[1,0]
	v_mad_legacy_u16 v4, v14, s3, v15
	v_lshlrev_b32_e32 v6, 3, v4
	v_mov_b32_e32 v4, v2
	v_mov_b32_e32 v5, v117
	ds_write_b64 v12, v[10:11] offset:432
	ds_write2_b64 v6, v[0:1], v[4:5] offset1:27
	v_lshl_add_u64 v[0:1], v[252:253], 0, s[12:13]
	s_movk_i32 s12, 0xcb
	s_movk_i32 s3, 0x6523
	v_mul_lo_u16_sdwa v2, v108, s12 dst_sel:DWORD dst_unused:UNUSED_PAD src0_sel:BYTE_0 src1_sel:DWORD
	v_cndmask_b32_e32 v144, v0, v110, vcc
	v_mul_u32_u24_sdwa v0, v112, s3 dst_sel:DWORD dst_unused:UNUSED_PAD src0_sel:WORD_0 src1_sel:DWORD
	v_lshrrev_b16_e32 v13, 14, v2
	v_mov_b32_e32 v117, v3
	v_lshrrev_b32_e32 v0, 21, v0
	v_mul_lo_u16_e32 v2, 0x51, v13
	v_accvgpr_write_b32 a229, v6
	ds_write_b64 v6, v[116:117] offset:432
	v_mul_lo_u16_e32 v0, 0x51, v0
	v_sub_u16_e32 v6, v108, v2
	v_mul_lo_u16_sdwa v2, v160, s12 dst_sel:DWORD dst_unused:UNUSED_PAD src0_sel:BYTE_0 src1_sel:DWORD
	v_accvgpr_write_b32 a228, v12
	v_sub_u16_e32 v12, v112, v0
	v_mul_u32_u24_sdwa v0, v114, s3 dst_sel:DWORD dst_unused:UNUSED_PAD src0_sel:WORD_0 src1_sel:DWORD
	v_lshrrev_b16_e32 v14, 14, v2
	v_lshrrev_b32_e32 v0, 21, v0
	v_mul_lo_u16_e32 v2, 0x51, v14
	v_cndmask_b32_e32 v145, v1, v111, vcc
	v_mul_lo_u16_e32 v1, 0x51, v0
	v_sub_u16_e32 v2, v160, v2
	v_sub_u16_e32 v1, v114, v1
	v_and_b32_e32 v15, 0xff, v2
	v_lshlrev_b16_e32 v2, 4, v12
	v_mov_b32_e32 v3, v215
	v_lshl_add_u64 v[2:3], s[10:11], 0, v[2:3]
	v_lshlrev_b16_e32 v4, 4, v1
	v_mov_b32_e32 v5, v215
	s_waitcnt lgkmcnt(0)
	; wave barrier
	s_waitcnt lgkmcnt(0)
	v_lshl_add_u64 v[4:5], s[10:11], 0, v[4:5]
	global_load_dwordx4 v[116:119], v[2:3], off offset:624
	global_load_dwordx4 v[124:127], v[4:5], off offset:624
	ds_read2_b64 v[120:123], v109 offset0:116 offset1:179
	v_accvgpr_write_b32 a227, v16
	v_accvgpr_write_b32 a222, v20
	v_cmp_lt_u16_e32 vcc, 17, v252
	v_lshlrev_b32_e32 v12, 3, v12
	v_accvgpr_write_b32 a249, v12
	s_load_dwordx2 s[12:13], s[0:1], 0x38
	v_cmp_lt_u16_e64 s[0:1], 53, v252
	s_waitcnt vmcnt(1)
	v_mov_b32_e32 v4, v116
	s_waitcnt lgkmcnt(0)
	v_pk_mul_f32 v[2:3], v[122:123], v[116:117] op_sel:[0,1]
	v_accvgpr_write_b32 a234, v116
	v_pk_fma_f32 v[4:5], v[122:123], v[4:5], v[2:3] op_sel:[0,0,1] op_sel_hi:[1,1,0] neg_lo:[0,0,1] neg_hi:[0,0,1]
	v_pk_fma_f32 v[2:3], v[122:123], v[116:117], v[2:3] op_sel:[0,0,1] op_sel_hi:[1,0,0]
	v_lshlrev_b32_e32 v5, 4, v15
	v_and_b32_e32 v2, 0xff, v6
	v_lshlrev_b32_e32 v6, 4, v2
	global_load_dwordx4 v[112:115], v5, s[10:11] offset:624
	global_load_dwordx4 v[108:111], v6, s[10:11] offset:624
	ds_read2_b64 v[138:141], v146 offset0:118 offset1:181
	v_lshlrev_b32_e32 v5, 4, v252
	s_waitcnt vmcnt(2)
	v_mov_b32_e32 v116, v124
	v_accvgpr_write_b32 a66, v127
	s_waitcnt vmcnt(1)
	v_mov_b32_e32 v8, v112
	v_pk_mul_f32 v[6:7], v[120:121], v[112:113] op_sel:[0,1]
	v_accvgpr_write_b32 a236, v112
	v_pk_fma_f32 v[8:9], v[120:121], v[8:9], v[6:7] op_sel:[0,0,1] op_sel_hi:[1,1,0] neg_lo:[0,0,1] neg_hi:[0,0,1]
	v_pk_fma_f32 v[6:7], v[120:121], v[112:113], v[6:7] op_sel:[0,0,1] op_sel_hi:[1,0,0]
	ds_read2_b64 v[120:123], v152 offset0:108 offset1:171
	v_mov_b32_e32 v6, v115
	v_mov_b32_e32 v9, v7
	v_accvgpr_write_b32 a238, v115
	s_waitcnt vmcnt(0)
	v_accvgpr_write_b32 a232, v111
	s_waitcnt lgkmcnt(0)
	v_pk_mul_f32 v[10:11], v[122:123], v[6:7] op_sel_hi:[1,0]
	v_mov_b32_e32 v6, v111
	v_pk_fma_f32 v[194:195], v[122:123], v[114:115], v[10:11] op_sel:[0,0,1] op_sel_hi:[1,1,0] neg_lo:[0,0,1] neg_hi:[0,0,1]
	v_pk_fma_f32 v[10:11], v[122:123], v[114:115], v[10:11] op_sel:[0,0,1] op_sel_hi:[1,0,0]
	v_pk_mul_f32 v[122:123], v[120:121], v[6:7] op_sel_hi:[1,0]
	v_mov_b32_e32 v6, v108
	v_pk_fma_f32 v[196:197], v[120:121], v[110:111], v[122:123] op_sel:[0,0,1] op_sel_hi:[1,1,0] neg_lo:[0,0,1] neg_hi:[0,0,1]
	v_pk_fma_f32 v[198:199], v[120:121], v[110:111], v[122:123] op_sel:[0,0,1] op_sel_hi:[1,0,0]
	v_pk_mul_f32 v[120:121], v[140:141], v[108:109] op_sel:[0,1]
	v_mov_b32_e32 v197, v199
	v_pk_fma_f32 v[200:201], v[140:141], v[6:7], v[120:121] op_sel:[0,0,1] op_sel_hi:[1,1,0] neg_lo:[0,0,1] neg_hi:[0,0,1]
	v_pk_fma_f32 v[202:203], v[140:141], v[108:109], v[120:121] op_sel:[0,0,1] op_sel_hi:[1,0,0]
	v_lshl_add_u64 v[120:121], v[144:145], 4, s[10:11]
	global_load_dwordx4 v[120:123], v[120:121], off offset:624
	s_nop 0
	global_load_dwordx4 v[128:131], v5, s[10:11] offset:624
	v_mul_u32_u24_sdwa v5, v132, s3 dst_sel:DWORD dst_unused:UNUSED_PAD src0_sel:WORD_0 src1_sel:DWORD
	ds_read2_b64 v[156:159], v153 offset0:120 offset1:183
	v_lshrrev_b32_e32 v16, 21, v5
	v_mul_lo_u16_e32 v5, 0x51, v16
	v_sub_u16_e32 v17, v132, v5
	v_mul_u32_u24_sdwa v5, v134, s3 dst_sel:DWORD dst_unused:UNUSED_PAD src0_sel:WORD_0 src1_sel:DWORD
	ds_read2_b64 v[162:165], v228 offset1:63
	v_lshrrev_b32_e32 v18, 21, v5
	v_mul_lo_u16_e32 v5, 0x51, v18
	v_sub_u16_e32 v19, v134, v5
	v_mul_u32_u24_sdwa v5, v136, s3 dst_sel:DWORD dst_unused:UNUSED_PAD src0_sel:WORD_0 src1_sel:DWORD
	v_lshrrev_b32_e32 v5, 21, v5
	v_mul_lo_u16_e32 v5, 0x51, v5
	v_sub_u16_e32 v20, v136, v5
	v_mov_b32_e32 v5, 0xf3
	v_cndmask_b32_e32 v5, 0, v5, vcc
	v_add_lshl_u32 v5, v144, v5, 3
	v_mov_b32_e32 v201, v203
	v_accvgpr_write_b32 a246, v5
	v_mov_b32_e32 v195, v11
	v_accvgpr_write_b32 a240, v108
	v_cmp_gt_u16_e32 vcc, 54, v252
	s_waitcnt vmcnt(1)
	v_mov_b32_e32 v6, v120
	v_pk_mul_f32 v[140:141], v[138:139], v[120:121] op_sel:[0,1]
	s_waitcnt vmcnt(0) lgkmcnt(1)
	v_pk_mul_f32 v[132:133], v[158:159], v[128:129] op_sel:[0,1]
	v_pk_fma_f32 v[204:205], v[138:139], v[6:7], v[140:141] op_sel:[0,0,1] op_sel_hi:[1,1,0] neg_lo:[0,0,1] neg_hi:[0,0,1]
	v_pk_fma_f32 v[206:207], v[138:139], v[120:121], v[140:141] op_sel:[0,0,1] op_sel_hi:[1,0,0]
	ds_read2_b64 v[138:141], v147 offset0:110 offset1:173
	v_mov_b32_e32 v6, v131
	v_mov_b32_e32 v205, v207
	v_accvgpr_write_b32 a242, v120
	v_mov_b32_e32 v108, v131
	s_waitcnt lgkmcnt(0)
	v_pk_mul_f32 v[142:143], v[138:139], v[6:7] op_sel_hi:[1,0]
	v_mov_b32_e32 v6, v123
	v_pk_fma_f32 v[166:167], v[138:139], v[130:131], v[142:143] op_sel:[0,0,1] op_sel_hi:[1,1,0] neg_lo:[0,0,1] neg_hi:[0,0,1]
	v_pk_fma_f32 v[138:139], v[138:139], v[130:131], v[142:143] op_sel:[0,0,1] op_sel_hi:[1,0,0]
	v_pk_mul_f32 v[142:143], v[140:141], v[6:7] op_sel_hi:[1,0]
	v_mov_b32_e32 v6, v128
	v_pk_fma_f32 v[134:135], v[158:159], v[6:7], v[132:133] op_sel:[0,0,1] op_sel_hi:[1,1,0] neg_lo:[0,0,1] neg_hi:[0,0,1]
	v_pk_fma_f32 v[132:133], v[158:159], v[128:129], v[132:133] op_sel:[0,0,1] op_sel_hi:[1,0,0]
	v_mov_b32_e32 v167, v139
	v_mov_b32_e32 v135, v133
	v_pk_add_f32 v[132:133], v[162:163], v[134:135]
	v_pk_fma_f32 v[208:209], v[140:141], v[122:123], v[142:143] op_sel:[0,0,1] op_sel_hi:[1,1,0] neg_lo:[0,0,1] neg_hi:[0,0,1]
	v_pk_add_f32 v[158:159], v[132:133], v[166:167]
	v_pk_add_f32 v[132:133], v[134:135], v[166:167]
	v_pk_add_f32 v[134:135], v[134:135], v[166:167] neg_lo:[0,1] neg_hi:[0,1]
	v_pk_fma_f32 v[132:133], v[132:133], 0.5, v[162:163] op_sel_hi:[1,0,1] neg_lo:[1,0,0] neg_hi:[1,0,0]
	v_pk_mul_f32 v[134:135], v[134:135], s[2:3] op_sel_hi:[1,0]
	v_pk_fma_f32 v[210:211], v[140:141], v[122:123], v[142:143] op_sel:[0,0,1] op_sel_hi:[1,0,0]
	v_pk_add_f32 v[162:163], v[132:133], v[134:135] op_sel:[0,1] op_sel_hi:[1,0] neg_lo:[0,1] neg_hi:[0,1]
	v_pk_add_f32 v[212:213], v[132:133], v[134:135] op_sel:[0,1] op_sel_hi:[1,0]
	v_lshlrev_b16_e32 v134, 4, v19
	v_mov_b32_e32 v135, v215
	v_lshlrev_b16_e32 v132, 4, v17
	v_mov_b32_e32 v133, v215
	v_lshl_add_u64 v[136:137], s[10:11], 0, v[134:135]
	v_lshlrev_b16_e32 v134, 4, v20
	v_lshl_add_u64 v[132:133], s[10:11], 0, v[132:133]
	v_lshl_add_u64 v[138:139], s[10:11], 0, v[134:135]
	ds_read_b64 v[214:215], v228 offset:13104
	global_load_dwordx4 v[132:135], v[132:133], off offset:624
	s_nop 0
	global_load_dwordx4 v[140:143], v[136:137], off offset:624
	s_nop 0
	global_load_dwordx4 v[136:139], v[138:139], off offset:624
	ds_read2_b64 v[166:169], v155 offset0:104 offset1:167
	ds_read2_b64 v[170:173], v154 offset0:124 offset1:187
	;; [unrolled: 1-line block ×7, first 2 shown]
	v_mov_b32_e32 v154, v212
	v_mov_b32_e32 v155, v163
	;; [unrolled: 1-line block ×3, first 2 shown]
	s_waitcnt lgkmcnt(0)
	; wave barrier
	s_waitcnt lgkmcnt(0)
	ds_write2_b64 v228, v[158:159], v[154:155] offset1:81
	v_pk_add_f32 v[144:145], v[204:205], v[208:209]
	v_pk_add_f32 v[158:159], v[204:205], v[208:209] neg_lo:[0,1] neg_hi:[0,1]
	v_pk_fma_f32 v[144:145], v[144:145], 0.5, v[164:165] op_sel_hi:[1,0,1] neg_lo:[1,0,0] neg_hi:[1,0,0]
	v_mov_b32_e32 v163, v213
	v_pk_mul_f32 v[158:159], v[158:159], s[2:3] op_sel_hi:[1,0]
	v_pk_add_f32 v[154:155], v[164:165], v[204:205]
	ds_write_b64 v228, v[162:163] offset:1296
	v_pk_add_f32 v[162:163], v[144:145], v[158:159] op_sel:[0,1] op_sel_hi:[1,0]
	v_pk_add_f32 v[144:145], v[144:145], v[158:159] op_sel:[0,1] op_sel_hi:[1,0] neg_lo:[0,1] neg_hi:[0,1]
	v_pk_add_f32 v[154:155], v[154:155], v[208:209]
	v_mov_b32_e32 v158, v162
	v_mov_b32_e32 v159, v145
	ds_write2_b64 v5, v[154:155], v[158:159] offset1:81
	v_pk_add_f32 v[154:155], v[200:201], v[196:197]
	v_pk_add_f32 v[158:159], v[200:201], v[196:197] neg_lo:[0,1] neg_hi:[0,1]
	v_mov_b32_e32 v145, v163
	v_pk_fma_f32 v[154:155], v[154:155], 0.5, v[190:191] op_sel_hi:[1,0,1] neg_lo:[1,0,0] neg_hi:[1,0,0]
	v_pk_mul_f32 v[158:159], v[158:159], s[2:3] op_sel_hi:[1,0]
	ds_write_b64 v5, v[144:145] offset:1296
	v_pk_add_f32 v[144:145], v[190:191], v[200:201]
	v_pk_add_f32 v[162:163], v[154:155], v[158:159] op_sel:[0,1] op_sel_hi:[1,0]
	v_pk_add_f32 v[154:155], v[154:155], v[158:159] op_sel:[0,1] op_sel_hi:[1,0] neg_lo:[0,1] neg_hi:[0,1]
	v_mul_u32_u24_e32 v5, 0xf3, v13
	v_pk_add_f32 v[144:145], v[144:145], v[196:197]
	v_add_lshl_u32 v2, v5, v2, 3
	v_mov_b32_e32 v158, v162
	v_mov_b32_e32 v159, v155
	v_pk_add_f32 v[6:7], v[8:9], v[194:195]
	v_pk_add_f32 v[10:11], v[192:193], v[8:9]
	v_mov_b32_e32 v155, v163
	v_pk_add_f32 v[8:9], v[8:9], v[194:195] neg_lo:[0,1] neg_hi:[0,1]
	ds_write2_b64 v2, v[144:145], v[158:159] offset1:81
	v_pk_fma_f32 v[6:7], v[6:7], 0.5, v[192:193] op_sel_hi:[1,0,1] neg_lo:[1,0,0] neg_hi:[1,0,0]
	v_accvgpr_write_b32 a247, v2
	ds_write_b64 v2, v[154:155] offset:1296
	v_pk_mul_f32 v[8:9], v[8:9], s[2:3] op_sel_hi:[1,0]
	v_mul_u32_u24_e32 v2, 0xf3, v14
	v_pk_add_f32 v[144:145], v[6:7], v[8:9] op_sel:[0,1] op_sel_hi:[1,0]
	v_pk_add_f32 v[6:7], v[6:7], v[8:9] op_sel:[0,1] op_sel_hi:[1,0] neg_lo:[0,1] neg_hi:[0,1]
	v_add_lshl_u32 v13, v2, v15, 3
	v_mov_b32_e32 v2, v119
	v_pk_add_f32 v[10:11], v[10:11], v[194:195]
	v_mov_b32_e32 v8, v144
	v_mov_b32_e32 v9, v7
	;; [unrolled: 1-line block ×3, first 2 shown]
	v_pk_mul_f32 v[2:3], v[186:187], v[2:3] op_sel_hi:[1,0]
	ds_write2_b64 v13, v[10:11], v[8:9] offset1:81
	v_pk_fma_f32 v[8:9], v[186:187], v[118:119], v[2:3] op_sel:[0,0,1] op_sel_hi:[1,1,0] neg_lo:[0,0,1] neg_hi:[0,0,1]
	v_pk_fma_f32 v[2:3], v[186:187], v[118:119], v[2:3] op_sel:[0,0,1] op_sel_hi:[1,0,0]
	v_mov_b32_e32 v7, v145
	v_mov_b32_e32 v9, v3
	v_pk_add_f32 v[2:3], v[4:5], v[8:9]
	v_pk_add_f32 v[10:11], v[4:5], v[8:9] neg_lo:[0,1] neg_hi:[0,1]
	v_pk_fma_f32 v[2:3], v[2:3], 0.5, v[170:171] op_sel_hi:[1,0,1] neg_lo:[1,0,0] neg_hi:[1,0,0]
	v_pk_mul_f32 v[10:11], v[10:11], s[2:3] op_sel_hi:[1,0]
	v_pk_add_f32 v[4:5], v[170:171], v[4:5]
	v_pk_add_f32 v[154:155], v[2:3], v[10:11] op_sel:[0,1] op_sel_hi:[1,0] neg_lo:[0,1] neg_hi:[0,1]
	v_pk_add_f32 v[2:3], v[2:3], v[10:11] op_sel:[0,1] op_sel_hi:[1,0]
	ds_write_b64 v13, v[6:7] offset:1296
	v_pk_add_f32 v[4:5], v[4:5], v[8:9]
	v_mov_b32_e32 v6, v2
	v_mov_b32_e32 v7, v155
	v_add_u32_e32 v2, 0x1400, v12
	ds_write2_b64 v2, v[4:5], v[6:7] offset0:89 offset1:170
	v_mov_b32_e32 v159, 0.5
	v_mov_b32_e32 v163, v181
	v_mov_b32_e32 v155, v3
	ds_write_b64 v12, v[154:155] offset:7128
	v_accvgpr_write_b32 a244, v123
	v_mov_b32_e32 v112, v128
	s_waitcnt vmcnt(2)
	v_pk_mul_f32 v[164:165], v[184:185], v[132:133] op_sel:[0,1]
	s_waitcnt vmcnt(1)
	v_mov_b32_e32 v2, v143
	v_pk_mul_f32 v[4:5], v[174:175], v[140:141] op_sel:[0,1]
	v_pk_mul_f32 v[8:9], v[168:169], v[2:3] op_sel_hi:[1,0]
	v_pk_fma_f32 v[6:7], v[174:175], v[140:141], v[4:5] op_sel:[0,0,1] op_sel_hi:[1,0,0]
	v_pk_fma_f32 v[10:11], v[168:169], v[142:143], v[8:9] op_sel:[0,0,1] op_sel_hi:[1,0,0]
	s_waitcnt vmcnt(0)
	v_mov_b32_e32 v158, v139
	v_pk_add_f32 v[144:145], v[6:7], v[10:11]
	v_mul_f32_e32 v162, v214, v138
	v_mov_b32_e32 v144, v215
	v_mov_b32_e32 v2, v135
	v_pk_fma_f32 v[144:145], v[144:145], v[158:159], v[162:163] neg_lo:[1,0,0] neg_hi:[1,0,0]
	v_pk_mul_f32 v[158:159], v[166:167], v[2:3] op_sel_hi:[1,0]
	v_mov_b32_e32 v2, v132
	v_pk_fma_f32 v[8:9], v[168:169], v[142:143], v[8:9] op_sel:[0,0,1] op_sel_hi:[1,0,0] neg_lo:[0,0,1] neg_hi:[0,0,1]
	v_pk_fma_f32 v[162:163], v[166:167], v[134:135], v[158:159] op_sel:[0,0,1] op_sel_hi:[1,1,0] neg_lo:[0,0,1] neg_hi:[0,0,1]
	v_pk_fma_f32 v[158:159], v[166:167], v[134:135], v[158:159] op_sel:[0,0,1] op_sel_hi:[1,0,0]
	v_pk_fma_f32 v[166:167], v[184:185], v[2:3], v[164:165] op_sel:[0,0,1] op_sel_hi:[1,1,0] neg_lo:[0,0,1] neg_hi:[0,0,1]
	v_mov_b32_e32 v2, v124
	v_pk_mul_f32 v[168:169], v[182:183], v[124:125] op_sel:[0,1]
	v_pk_fma_f32 v[164:165], v[184:185], v[132:133], v[164:165] op_sel:[0,0,1] op_sel_hi:[1,0,0]
	v_pk_fma_f32 v[170:171], v[182:183], v[2:3], v[168:169] op_sel:[0,0,1] op_sel_hi:[1,1,0] neg_lo:[0,0,1] neg_hi:[0,0,1]
	v_mov_b32_e32 v2, v127
	v_pk_fma_f32 v[168:169], v[182:183], v[124:125], v[168:169] op_sel:[0,0,1] op_sel_hi:[1,0,0]
	v_pk_mul_f32 v[182:183], v[188:189], v[2:3] op_sel_hi:[1,0]
	v_mov_b32_e32 v171, v169
	v_pk_fma_f32 v[184:185], v[188:189], v[126:127], v[182:183] op_sel:[0,0,1] op_sel_hi:[1,1,0] neg_lo:[0,0,1] neg_hi:[0,0,1]
	v_pk_fma_f32 v[182:183], v[188:189], v[126:127], v[182:183] op_sel:[0,0,1] op_sel_hi:[1,0,0]
	v_mov_b32_e32 v167, v165
	v_mov_b32_e32 v185, v183
	v_pk_add_f32 v[168:169], v[170:171], v[184:185]
	v_mov_b32_e32 v163, v159
	v_pk_fma_f32 v[168:169], v[168:169], 0.5, v[172:173] op_sel_hi:[1,0,1] neg_lo:[1,0,0] neg_hi:[1,0,0]
	v_pk_add_f32 v[172:173], v[172:173], v[170:171]
	v_pk_add_f32 v[170:171], v[170:171], v[184:185] neg_lo:[0,1] neg_hi:[0,1]
	v_pk_add_f32 v[2:3], v[172:173], v[184:185]
	v_pk_mul_f32 v[170:171], v[170:171], s[2:3] op_sel_hi:[1,0]
	s_movk_i32 s3, 0xf3
	v_pk_add_f32 v[182:183], v[168:169], v[170:171] op_sel:[0,1] op_sel_hi:[1,0] neg_lo:[0,1] neg_hi:[0,1]
	v_pk_add_f32 v[168:169], v[168:169], v[170:171] op_sel:[0,1] op_sel_hi:[1,0]
	v_mad_legacy_u16 v0, v0, s3, v1
	v_lshlrev_b32_e32 v6, 3, v0
	v_mov_b32_e32 v0, v168
	v_mov_b32_e32 v1, v183
	ds_write2_b64 v6, v[2:3], v[0:1] offset1:81
	v_pk_add_f32 v[0:1], v[166:167], v[162:163]
	v_pk_add_f32 v[2:3], v[166:167], v[162:163] neg_lo:[0,1] neg_hi:[0,1]
	v_pk_fma_f32 v[0:1], v[0:1], 0.5, v[178:179] op_sel_hi:[1,0,1] neg_lo:[1,0,0] neg_hi:[1,0,0]
	v_pk_mul_f32 v[2:3], v[2:3], s[2:3] op_sel_hi:[1,0]
	v_mov_b32_e32 v183, v169
	v_pk_add_f32 v[154:155], v[0:1], v[2:3] op_sel:[0,1] op_sel_hi:[1,0] neg_lo:[0,1] neg_hi:[0,1]
	v_pk_add_f32 v[0:1], v[0:1], v[2:3] op_sel:[0,1] op_sel_hi:[1,0]
	v_accvgpr_write_b32 a254, v6
	ds_write_b64 v6, v[182:183] offset:1296
	v_pk_add_f32 v[2:3], v[178:179], v[166:167]
	v_mad_legacy_u16 v6, v16, s3, v17
	v_pk_add_f32 v[2:3], v[2:3], v[162:163]
	v_lshlrev_b32_e32 v12, 3, v6
	v_mov_b32_e32 v158, v0
	v_mov_b32_e32 v159, v155
	ds_write2_b64 v12, v[2:3], v[158:159] offset1:81
	v_mul_f32_e32 v2, v176, v137
	v_pk_fma_f32 v[4:5], v[174:175], v[140:141], v[4:5] op_sel:[0,0,1] op_sel_hi:[1,0,0] neg_lo:[0,0,1] neg_hi:[0,0,1]
	v_mul_f32_e32 v10, v214, v139
	v_fmac_f32_e32 v2, v177, v136
	v_mul_f32_e32 v0, v177, v137
	v_fmac_f32_e32 v10, v215, v138
	v_mov_b32_e32 v5, v7
	v_fma_f32 v6, v176, v136, -v0
	v_add_f32_e32 v0, v2, v10
	v_pk_add_f32 v[164:165], v[180:181], v[4:5]
	v_mov_b32_e32 v3, v7
	v_mov_b32_e32 v7, v4
	;; [unrolled: 1-line block ×4, first 2 shown]
	v_fma_f32 v158, -0.5, v0, v157
	v_add_f32_e32 v162, v157, v2
	v_mov_b32_e32 v157, v180
	v_pk_add_f32 v[166:167], v[6:7], v[4:5]
	v_pk_add_f32 v[2:3], v[2:3], v[10:11] neg_lo:[0,1] neg_hi:[0,1]
	v_add_f32_e32 v0, v156, v6
	v_pk_fma_f32 v[156:157], v[166:167], 0.5, v[156:157] op_sel_hi:[1,0,1] neg_lo:[1,0,0] neg_hi:[1,0,0]
	v_pk_mul_f32 v[166:167], v[2:3], s[2:3] op_sel_hi:[1,0]
	v_pk_add_f32 v[4:5], v[6:7], v[4:5] neg_lo:[0,1] neg_hi:[0,1]
	v_mov_b32_e32 v9, v11
	v_mov_b32_e32 v163, v167
	;; [unrolled: 1-line block ×3, first 2 shown]
	v_pk_mul_f32 v[6:7], v[4:5], s[2:3] op_sel_hi:[1,0]
	v_mov_b32_e32 v159, v145
	v_pk_add_f32 v[242:243], v[162:163], v[10:11]
	v_mov_b32_e32 v155, v1
	v_mad_legacy_u16 v10, v18, s3, v19
	v_mov_b32_e32 v1, v7
	v_pk_fma_f32 v[186:187], v[4:5], s[2:3], v[158:159] op_sel_hi:[1,0,1]
	v_pk_fma_f32 v[184:185], v[2:3], s[2:3], v[156:157] op_sel_hi:[1,0,1] neg_lo:[1,0,0] neg_hi:[1,0,0]
	v_pk_add_f32 v[244:245], v[144:145], v[0:1]
	v_pk_fma_f32 v[0:1], v[4:5], s[2:3], v[144:145] op_sel_hi:[1,0,1] neg_lo:[1,0,0] neg_hi:[1,0,0]
	v_lshlrev_b32_e32 v7, 3, v10
	v_mov_b32_e32 v4, v185
	v_mov_b32_e32 v5, v187
	ds_write_b64 v12, v[154:155] offset:1296
	ds_write_b64 v7, v[4:5] offset:1296
	v_mov_b32_e32 v167, v158
	v_mov_b32_e32 v5, v6
	;; [unrolled: 1-line block ×3, first 2 shown]
	v_pk_fma_f32 v[2:3], v[2:3], s[2:3], v[156:157] op_sel_hi:[1,0,1]
	v_pk_add_f32 v[246:247], v[166:167], v[4:5] neg_lo:[0,1] neg_hi:[0,1]
	v_pk_add_f32 v[8:9], v[164:165], v[8:9]
	v_mov_b32_e32 v0, v243
	v_mov_b32_e32 v246, v2
	ds_write2_b64 v7, v[8:9], v[0:1] offset1:81
	v_lshlrev_b32_e32 v0, 3, v20
	v_mov_b32_e32 v2, v184
	v_mov_b32_e32 v3, v186
	ds_write_b64 v0, v[2:3] offset:12960
	v_mov_b32_e32 v245, v242
	v_accvgpr_write_b32 a70, v0
	v_add_u32_e32 v0, 0x2c00, v0
	ds_write2_b64 v0, v[244:245], v[246:247] offset0:50 offset1:131
	s_waitcnt lgkmcnt(0)
	; wave barrier
	s_waitcnt lgkmcnt(0)
	ds_read_b64 v[162:163], v228 offset:12672
                                        ; implicit-def: $vgpr250_vgpr251
	ds_read2_b64 v[224:227], v153 offset0:102 offset1:165
	ds_read2_b64 v[212:215], v146 offset0:100 offset1:217
	;; [unrolled: 1-line block ×8, first 2 shown]
	ds_read2_b64 v[40:43], v228 offset1:63
	ds_read2_b64 v[196:199], v228 offset0:126 offset1:243
	v_mov_b32_e32 v120, v119
	v_accvgpr_write_b32 a248, v13
	v_mov_b32_e32 v128, v143
	v_accvgpr_write_b32 a64, v135
	v_accvgpr_write_b32 a68, v132
	;; [unrolled: 1-line block ×4, first 2 shown]
	s_and_saveexec_b64 s[2:3], s[0:1]
	s_xor_b64 s[2:3], exec, s[2:3]
; %bb.2:
	v_mov_b32_e32 v245, v1
	v_mov_b32_e32 v250, v247
; %bb.3:
	s_or_saveexec_b64 s[2:3], s[2:3]
	v_mov_b32_e32 v60, v38
	v_mov_b32_e32 v56, v30
	;; [unrolled: 1-line block ×5, first 2 shown]
	s_xor_b64 exec, exec, s[2:3]
	s_cbranch_execz .LBB0_5
; %bb.4:
	v_add_u32_e32 v4, 0x5c0, v228
	v_add_u32_e32 v0, 0x1500, v228
	ds_read2_b64 v[0:3], v0 offset0:3 offset1:246
	ds_read2_b64 v[8:11], v4 offset0:5 offset1:248
	v_add_u32_e32 v4, 0x2400, v228
	ds_read2_b64 v[182:185], v4 offset0:9 offset1:252
	ds_read_b64 v[4:5], v228 offset:13176
	s_waitcnt lgkmcnt(3)
	v_mov_b32_e32 v244, v2
	s_waitcnt lgkmcnt(2)
	v_mov_b32_e32 v245, v11
	v_mov_b32_e32 v242, v3
	;; [unrolled: 1-line block ×3, first 2 shown]
	s_waitcnt lgkmcnt(1)
	v_mov_b32_e32 v246, v182
	s_waitcnt lgkmcnt(0)
	v_mov_b32_e32 v247, v5
	v_mov_b32_e32 v250, v183
	;; [unrolled: 1-line block ×6, first 2 shown]
.LBB0_5:
	s_or_b64 exec, exec, s[2:3]
	s_mov_b64 s[2:3], 0x1350
	v_mad_u64_u32 v[188:189], s[14:15], v252, 48, s[10:11]
	v_lshl_add_u64 v[164:165], v[188:189], 0, s[2:3]
	global_load_dwordx4 v[144:147], v[188:189], off offset:1952
	global_load_dwordx4 v[148:151], v[164:165], off offset:16
	s_movk_i32 s2, 0x1000
	s_waitcnt lgkmcnt(6)
	v_mov_b32_e32 v22, v207
	v_mov_b32_e32 v23, v214
	s_mov_b32 s22, 0x3eae86e6
	s_mov_b32 s23, 0xbf08b237
	;; [unrolled: 1-line block ×7, first 2 shown]
	v_accvgpr_mov_b32 a107, a106
	v_accvgpr_mov_b32 a105, a104
	;; [unrolled: 1-line block ×68, first 2 shown]
	s_waitcnt vmcnt(1) lgkmcnt(5)
	v_pk_mul_f32 v[0:1], v[156:157], v[146:147] op_sel_hi:[1,0]
	v_mov_b32_e32 v2, v147
	v_pk_fma_f32 v[232:233], v[156:157], v[2:3], v[0:1] op_sel:[0,0,1] op_sel_hi:[1,0,0]
	v_pk_fma_f32 v[234:235], v[156:157], v[2:3], v[0:1] op_sel:[0,0,1] op_sel_hi:[1,0,0] neg_lo:[1,0,0] neg_hi:[1,0,0]
	v_add_co_u32_e64 v0, s[2:3], s2, v188
	s_waitcnt vmcnt(0)
	v_mov_b32_e32 v11, v151
	v_addc_co_u32_e64 v1, s[2:3], 0, v189, s[2:3]
	global_load_dwordx4 v[168:171], v[164:165], off offset:32
	global_load_dwordx4 v[172:175], v[0:1], off offset:848
	s_mov_b64 s[2:3], 0x1f20
	v_mov_b32_e32 v17, v149
	s_waitcnt lgkmcnt(4)
	v_mul_f32_e32 v21, v216, v149
	v_mov_b32_e32 v26, v145
	v_mov_b32_e32 v233, v235
	v_mul_f32_e32 v15, v217, v148
	v_mul_f32_e32 v25, v210, v151
	v_accvgpr_mov_b32 a72, a73
	v_accvgpr_mov_b32 a75, a74
	;; [unrolled: 1-line block ×11, first 2 shown]
	v_mov_b32_e32 v48, v49
	v_mov_b32_e32 v51, v50
	v_accvgpr_mov_b32 a225, a224
	v_accvgpr_mov_b32 a165, a164
	v_accvgpr_mov_b32 a163, a162
	v_accvgpr_mov_b32 a153, a152
	v_accvgpr_mov_b32 a157, a156
	v_accvgpr_mov_b32 a147, a146
	v_accvgpr_mov_b32 a159, a158
	v_accvgpr_mov_b32 a161, a160
	v_mov_b32_e32 v52, v53
	v_accvgpr_mov_b32 a151, a150
	v_accvgpr_mov_b32 a173, a172
	v_mov_b32_e32 v63, v62
	v_accvgpr_mov_b32 a171, a170
	v_accvgpr_mov_b32 a175, a174
	;; [unrolled: 1-line block ×4, first 2 shown]
	v_mov_b32_e32 v68, v69
	v_mov_b32_e32 v71, v70
	v_accvgpr_mov_b32 a181, a180
	v_accvgpr_mov_b32 a185, a184
	v_mov_b32_e32 v64, v65
	v_mov_b32_e32 v67, v66
	v_accvgpr_mov_b32 a177, a176
	v_accvgpr_mov_b32 a189, a188
	v_mov_b32_e32 v80, v81
	v_mov_b32_e32 v83, v82
	v_accvgpr_write_b32 a230, v72
	v_accvgpr_write_b32 a231, v72
	v_accvgpr_mov_b32 a191, a190
	v_mov_b32_e32 v76, v77
	v_mov_b32_e32 v79, v78
	v_accvgpr_mov_b32 a193, a192
	v_accvgpr_mov_b32 a197, a196
	v_mov_b32_e32 v72, v73
	v_mov_b32_e32 v75, v74
	v_accvgpr_mov_b32 a187, a186
	;; [unrolled: 4-line block ×7, first 2 shown]
	v_accvgpr_mov_b32 a219, a218
	v_mov_b32_e32 v100, v101
	s_waitcnt vmcnt(1)
	v_pk_mul_f32 v[2:3], v[158:159], v[170:171] op_sel_hi:[1,0]
	v_mov_b32_e32 v4, v171
	v_pk_fma_f32 v[240:241], v[158:159], v[4:5], v[2:3] op_sel:[0,0,1] op_sel_hi:[1,0,0]
	v_pk_fma_f32 v[200:201], v[158:159], v[4:5], v[2:3] op_sel:[0,0,1] op_sel_hi:[1,0,0] neg_lo:[1,0,0] neg_hi:[1,0,0]
	global_load_dwordx4 v[156:159], v[0:1], off offset:3872
	s_waitcnt vmcnt(1) lgkmcnt(2)
	v_pk_mul_f32 v[2:3], v[152:153], v[172:173] op_sel_hi:[1,0]
	v_lshl_add_u64 v[0:1], v[188:189], 0, s[2:3]
	v_pk_fma_f32 v[202:203], v[152:153], v[172:173], v[2:3] op_sel:[0,1,1] op_sel_hi:[1,1,0]
	v_pk_fma_f32 v[248:249], v[152:153], v[172:173], v[2:3] op_sel:[0,1,1] op_sel_hi:[1,1,0] neg_lo:[1,0,0] neg_hi:[1,0,0]
	global_load_dwordx4 v[180:183], v[0:1], off offset:16
	v_mov_b32_e32 v200, v185
	v_mov_b32_e32 v10, v175
	;; [unrolled: 1-line block ×3, first 2 shown]
	s_mov_b32 s2, 0x3d64c772
	s_mov_b32 s3, 0x3f4a47b2
	;; [unrolled: 1-line block ×4, first 2 shown]
	v_mov_b32_e32 v203, v249
	v_mov_b32_e32 v241, v201
	;; [unrolled: 1-line block ×5, first 2 shown]
	v_accvgpr_mov_b32 a213, a212
	v_accvgpr_write_b32 a144, v140
	v_accvgpr_write_b32 a145, v140
	v_mov_b32_e32 v140, v141
	v_mov_b32_e32 v143, v142
	v_accvgpr_write_b32 a134, v128
	v_accvgpr_write_b32 a135, v128
	;; [unrolled: 1-line block ×4, first 2 shown]
	v_mov_b32_e32 v128, v129
	v_mov_b32_e32 v131, v130
	v_accvgpr_write_b32 a250, v108
	v_accvgpr_write_b32 a251, v108
	v_accvgpr_mov_b32 a130, a68
	v_accvgpr_mov_b32 a131, a68
	v_mov_b32_e32 v132, v133
	v_mov_b32_e32 v135, v134
	v_accvgpr_mov_b32 a81, a64
	v_accvgpr_write_b32 a65, v116
	v_mov_b32_e32 v124, v125
	v_mov_b32_e32 v127, v126
	v_accvgpr_mov_b32 a67, a66
	v_accvgpr_mov_b32 a235, a234
	v_mov_b32_e32 v119, v118
	v_accvgpr_write_b32 a68, v120
	v_accvgpr_write_b32 a69, v120
	v_accvgpr_mov_b32 a237, a236
	v_mov_b32_e32 v112, v113
	v_mov_b32_e32 v115, v114
	v_accvgpr_mov_b32 a239, a238
	v_accvgpr_mov_b32 a241, a240
	v_mov_b32_e32 v108, v109
	v_mov_b32_e32 v111, v110
	v_accvgpr_mov_b32 a233, a232
	;; [unrolled: 4-line block ×3, first 2 shown]
	s_waitcnt vmcnt(1)
	v_pk_mul_f32 v[2:3], v[154:155], v[156:157] op_sel_hi:[1,0]
	s_nop 0
	v_pk_fma_f32 v[254:255], v[154:155], v[156:157], v[2:3] op_sel:[0,1,1] op_sel_hi:[1,1,0]
	v_pk_fma_f32 v[230:231], v[154:155], v[156:157], v[2:3] op_sel:[0,1,1] op_sel_hi:[1,1,0] neg_lo:[1,0,0] neg_hi:[1,0,0]
	v_subrev_u32_e32 v2, 54, v252
	v_cndmask_b32_e32 v2, v2, v160, vcc
	v_mul_hi_i32_i24_e32 v3, 48, v2
	v_mul_i32_i24_e32 v2, 48, v2
	v_lshl_add_u64 v[4:5], s[10:11], 0, v[2:3]
	global_load_dwordx4 v[176:179], v[0:1], off offset:32
	global_load_dwordx4 v[152:155], v[4:5], off offset:1920
	v_mov_b32_e32 v230, v187
	s_waitcnt vmcnt(2)
	v_mov_b32_e32 v19, v181
	s_mov_b32 s10, 0x3ee1c552
	v_mov_b32_e32 v255, v231
	s_waitcnt vmcnt(1)
	v_pk_mul_f32 v[0:1], v[162:163], v[178:179] op_sel_hi:[1,0]
	v_mov_b32_e32 v6, v179
	v_pk_fma_f32 v[2:3], v[162:163], v[6:7], v[0:1] op_sel:[0,0,1] op_sel_hi:[1,0,0]
	v_pk_fma_f32 v[0:1], v[162:163], v[6:7], v[0:1] op_sel:[0,0,1] op_sel_hi:[1,0,0] neg_lo:[1,0,0] neg_hi:[1,0,0]
	global_load_dwordx4 v[160:163], v[4:5], off offset:1952
	global_load_dwordx4 v[36:39], v[4:5], off offset:1936
	v_mov_b32_e32 v18, v177
	s_waitcnt vmcnt(1)
	v_mov_b32_e32 v0, v161
	v_pk_mul_f32 v[4:5], v[184:185], v[0:1]
	v_mov_b32_e32 v6, v161
	s_waitcnt vmcnt(0)
	v_mov_b32_e32 v7, v39
	v_pk_fma_f32 v[236:237], v[186:187], v[160:161], v[4:5]
	v_mov_b32_e32 v0, v187
	v_mov_b32_e32 v187, v246
	v_pk_mul_f32 v[4:5], v[184:185], v[154:155]
	v_pk_mul_f32 v[238:239], v[186:187], v[6:7]
	v_mov_b32_e32 v47, v5
	v_mov_b32_e32 v185, v250
	;; [unrolled: 1-line block ×4, first 2 shown]
	v_pk_fma_f32 v[166:167], v[184:185], v[4:5], v[238:239] neg_lo:[0,0,1] neg_hi:[0,0,1]
	global_load_dwordx4 v[184:187], v[188:189], off offset:1920
	s_nop 0
	global_load_dwordx4 v[188:191], v[188:189], off offset:1936
	v_mov_b32_e32 v194, v39
	v_mov_b32_e32 v195, v38
	v_mul_f32_e32 v5, v227, v175
	v_mov_b64_e32 v[38:39], v[8:9]
	v_mov_b32_e32 v8, v227
	v_mov_b32_e32 v227, v211
	v_mov_b32_e32 v4, v225
	v_pk_mul_f32 v[10:11], v[226:227], v[10:11]
	v_fma_f32 v14, v226, v174, -v5
	v_mov_b32_e32 v226, v221
	v_mul_f32_e32 v5, v223, v177
	v_mov_b32_e32 v227, v216
	v_mov_b32_e32 v9, v210
	v_mul_f32_e32 v211, v211, v150
	v_mov_b32_e32 v210, v249
	v_accvgpr_write_b32 a137, v37
	v_accvgpr_write_b32 a136, v36
	s_waitcnt vmcnt(1)
	v_mul_f32_e32 v3, v225, v187
	v_fma_f32 v12, v224, v186, -v3
	v_mul_f32_e32 v3, v221, v169
	v_mov_b32_e32 v225, v209
	v_mov_b32_e32 v6, v187
	s_waitcnt vmcnt(0)
	v_mov_b32_e32 v7, v191
	v_mov_b32_e32 v221, v217
	v_fma_f32 v20, v220, v168, -v3
	v_mul_f32_e32 v3, v213, v159
	v_pk_mul_f32 v[6:7], v[224:225], v[6:7]
	v_pk_mul_f32 v[16:17], v[220:221], v[16:17]
	v_fma_f32 v220, v222, v176, -v5
	v_fma_f32 v216, v212, v158, -v3
	v_mul_f32_e32 v3, v207, v145
	v_mov_b32_e32 v207, v215
	v_mov_b32_e32 v5, v208
	;; [unrolled: 1-line block ×5, first 2 shown]
	v_pk_mul_f32 v[26:27], v[206:207], v[26:27]
	v_pk_fma_f32 v[28:29], v[4:5], v[28:29], v[6:7] neg_lo:[0,0,1] neg_hi:[0,0,1]
	v_pk_fma_f32 v[4:5], v[4:5], v[186:187], v[6:7]
	v_mov_b32_e32 v6, v144
	v_mov_b32_e32 v7, v188
	v_pk_fma_f32 v[6:7], v[22:23], v[6:7], v[26:27] neg_lo:[0,0,1] neg_hi:[0,0,1]
	v_pk_fma_f32 v[22:23], v[22:23], v[144:145], v[26:27]
	s_waitcnt lgkmcnt(0)
	v_pk_mul_f32 v[26:27], v[198:199], v[184:185] op_sel_hi:[1,0]
	v_mov_b32_e32 v224, v223
	v_mov_b32_e32 v223, v219
	v_pk_fma_f32 v[30:31], v[198:199], v[184:185], v[26:27] op_sel:[0,1,1] op_sel_hi:[1,1,0]
	v_pk_fma_f32 v[26:27], v[198:199], v[184:185], v[26:27] op_sel:[0,1,1] op_sel_hi:[1,1,0] neg_lo:[1,0,0] neg_hi:[1,0,0]
	v_pk_mul_f32 v[18:19], v[222:223], v[18:19]
	v_mul_f32_e32 v221, v218, v181
	v_mov_b32_e32 v225, v218
	v_mov_b32_e32 v218, v213
	;; [unrolled: 1-line block ×8, first 2 shown]
	v_mul_f32_e32 v13, v215, v188
	v_pk_mul_f32 v[212:213], v[212:213], v[222:223]
	v_mul_f32_e32 v215, v214, v189
	v_mul_f32_e32 v209, v209, v190
	v_mul_f32_e32 v223, v208, v191
	v_fma_f32 v214, v206, v144, -v3
	v_pk_add_f32 v[198:199], v[30:31], v[232:233]
	v_pk_add_f32 v[30:31], v[30:31], v[232:233] neg_lo:[0,1] neg_hi:[0,1]
	v_pk_add_f32 v[232:233], v[4:5], v[22:23]
	v_mov_b32_e32 v208, v27
	v_mov_b32_e32 v222, v235
	v_pk_add_f32 v[4:5], v[4:5], v[22:23] neg_lo:[0,1] neg_hi:[0,1]
	v_pk_add_f32 v[22:23], v[208:209], v[222:223]
	v_pk_add_f32 v[26:27], v[12:13], v[214:215]
	v_mov_b32_e32 v6, v7
	v_mov_b32_e32 v7, v232
	;; [unrolled: 1-line block ×8, first 2 shown]
	v_pk_add_f32 v[6:7], v[6:7], v[28:29]
	v_pk_add_f32 v[234:235], v[26:27], v[22:23]
	v_pk_add_f32 v[12:13], v[12:13], v[208:209] neg_lo:[0,1] neg_hi:[0,1]
	v_mov_b32_e32 v222, v6
	v_mov_b32_e32 v223, v198
	v_mov_b32_e32 v27, v235
	v_mov_b32_e32 v28, v30
	v_mov_b32_e32 v29, v5
	v_mov_b32_e32 v208, v12
	v_mov_b32_e32 v209, v31
	v_pk_add_f32 v[222:223], v[222:223], v[26:27] neg_lo:[0,1] neg_hi:[0,1]
	v_mov_b32_e32 v23, v235
	v_pk_add_f32 v[234:235], v[234:235], v[6:7]
	v_mov_b32_e32 v7, v232
	v_pk_add_f32 v[28:29], v[28:29], v[12:13] neg_lo:[0,1] neg_hi:[0,1]
	v_pk_add_f32 v[208:209], v[208:209], v[4:5] neg_lo:[0,1] neg_hi:[0,1]
	;; [unrolled: 1-line block ×3, first 2 shown]
	v_pk_mul_f32 v[222:223], v[222:223], s[2:3]
	v_pk_add_f32 v[32:33], v[40:41], v[234:235]
	v_mov_b32_e32 v27, v232
	v_mov_b32_e32 v23, v198
	v_pk_mul_f32 v[208:209], v[208:209], s[14:15]
	v_pk_add_f32 v[214:215], v[4:5], v[12:13]
	v_pk_fma_f32 v[34:35], v[234:235], s[24:25], v[32:33] op_sel_hi:[1,0,1] neg_lo:[1,0,0] neg_hi:[1,0,0]
	v_pk_fma_f32 v[234:235], v[6:7], s[20:21], v[222:223]
	v_mov_b32_e32 v5, v13
	v_pk_add_f32 v[12:13], v[26:27], v[22:23] neg_lo:[0,1] neg_hi:[0,1]
	v_pk_mul_f32 v[22:23], v[28:29], s[22:23]
	v_pk_mul_f32 v[6:7], v[6:7], s[20:21]
	v_pk_fma_f32 v[164:165], v[28:29], s[22:23], v[208:209]
	v_pk_add_f32 v[4:5], v[4:5], v[30:31] neg_lo:[0,1] neg_hi:[0,1]
	v_mov_b32_e32 v27, v223
	v_mov_b32_e32 v28, v22
	;; [unrolled: 1-line block ×5, first 2 shown]
	v_pk_add_f32 v[214:215], v[214:215], v[30:31]
	v_mov_b32_e32 v26, v6
	v_pk_fma_f32 v[28:29], v[4:5], s[18:19], v[28:29] op_sel_hi:[1,0,1] neg_lo:[1,0,1] neg_hi:[1,0,1]
	v_pk_fma_f32 v[6:7], v[12:13], s[16:17], v[222:223] op_sel_hi:[1,0,1] neg_lo:[0,0,1] neg_hi:[0,0,1]
	;; [unrolled: 1-line block ×3, first 2 shown]
	v_pk_add_f32 v[6:7], v[6:7], v[34:35]
	v_pk_fma_f32 v[4:5], v[214:215], s[10:11], v[4:5] op_sel_hi:[1,0,1]
	v_pk_fma_f32 v[26:27], v[12:13], s[16:17], v[26:27] op_sel_hi:[1,0,1] neg_lo:[1,0,1] neg_hi:[1,0,1]
	v_pk_add_f32 v[12:13], v[6:7], v[4:5] neg_lo:[0,1] neg_hi:[0,1]
	v_pk_add_f32 v[4:5], v[6:7], v[4:5]
	v_mov_b32_e32 v6, v12
	v_mov_b32_e32 v7, v5
	;; [unrolled: 1-line block ×3, first 2 shown]
	ds_write_b64 v228, v[4:5] offset:7776
	v_mov_b32_e32 v4, v174
	v_mov_b32_e32 v5, v150
	ds_write_b64 v228, v[6:7] offset:5832
	v_pk_fma_f32 v[4:5], v[8:9], v[4:5], v[10:11] neg_lo:[0,0,1] neg_hi:[0,0,1]
	v_pk_fma_f32 v[6:7], v[8:9], v[174:175], v[10:11]
	v_mov_b32_e32 v8, v168
	v_mov_b32_e32 v9, v148
	v_pk_fma_f32 v[8:9], v[226:227], v[8:9], v[16:17] neg_lo:[0,0,1] neg_hi:[0,0,1]
	v_pk_fma_f32 v[10:11], v[226:227], v[168:169], v[16:17]
	v_mov_b32_e32 v7, v5
	v_mov_b32_e32 v11, v9
	v_pk_add_f32 v[12:13], v[202:203], v[240:241]
	v_pk_add_f32 v[22:23], v[6:7], v[10:11]
	v_pk_add_f32 v[6:7], v[6:7], v[10:11] neg_lo:[0,1] neg_hi:[0,1]
	v_pk_add_f32 v[10:11], v[210:211], v[24:25]
	v_pk_add_f32 v[24:25], v[14:15], v[20:21]
	v_mov_b32_e32 v8, v9
	v_mov_b32_e32 v9, v22
	;; [unrolled: 1-line block ×4, first 2 shown]
	v_pk_add_f32 v[234:235], v[234:235], v[34:35]
	v_pk_fma_f32 v[164:165], v[214:215], s[10:11], v[164:165] op_sel_hi:[1,0,1]
	v_pk_add_f32 v[26:27], v[26:27], v[34:35]
	v_pk_fma_f32 v[28:29], v[214:215], s[10:11], v[28:29] op_sel_hi:[1,0,1]
	v_pk_add_f32 v[4:5], v[8:9], v[4:5]
	v_pk_add_f32 v[8:9], v[24:25], v[10:11]
	;; [unrolled: 1-line block ×3, first 2 shown]
	v_pk_add_f32 v[164:165], v[234:235], v[164:165] neg_lo:[0,1] neg_hi:[0,1]
	v_pk_add_f32 v[30:31], v[26:27], v[28:29]
	v_pk_add_f32 v[26:27], v[26:27], v[28:29] neg_lo:[0,1] neg_hi:[0,1]
	v_mov_b32_e32 v15, v14
	v_mov_b32_e32 v14, v11
	;; [unrolled: 1-line block ×6, first 2 shown]
	v_pk_add_f32 v[8:9], v[8:9], v[4:5]
	v_mov_b32_e32 v234, v192
	v_mov_b32_e32 v235, v165
	;; [unrolled: 1-line block ×6, first 2 shown]
	v_pk_add_f32 v[16:17], v[202:203], v[240:241] neg_lo:[0,1] neg_hi:[0,1]
	v_pk_add_f32 v[14:15], v[14:15], v[20:21] neg_lo:[0,1] neg_hi:[0,1]
	v_pk_add_f32 v[20:21], v[42:43], v[8:9]
	v_mov_b32_e32 v30, v4
	v_mov_b32_e32 v31, v12
	ds_write_b64 v228, v[234:235] offset:1944
	ds_write_b64 v228, v[28:29] offset:3888
	;; [unrolled: 1-line block ×4, first 2 shown]
	ds_write2_b64 v228, v[32:33], v[20:21] offset1:63
	v_pk_fma_f32 v[8:9], v[8:9], s[24:25], v[20:21] op_sel_hi:[1,0,1] neg_lo:[1,0,0] neg_hi:[1,0,0]
	v_mov_b32_e32 v20, v16
	v_mov_b32_e32 v21, v7
	;; [unrolled: 1-line block ×4, first 2 shown]
	v_pk_add_f32 v[30:31], v[30:31], v[24:25] neg_lo:[0,1] neg_hi:[0,1]
	v_mov_b32_e32 v5, v22
	v_pk_add_f32 v[20:21], v[20:21], v[14:15] neg_lo:[0,1] neg_hi:[0,1]
	v_pk_add_f32 v[26:27], v[26:27], v[6:7] neg_lo:[0,1] neg_hi:[0,1]
	;; [unrolled: 1-line block ×3, first 2 shown]
	v_pk_mul_f32 v[30:31], v[30:31], s[2:3]
	v_pk_mul_f32 v[26:27], v[26:27], s[14:15]
	v_pk_add_f32 v[28:29], v[6:7], v[14:15]
	v_pk_fma_f32 v[32:33], v[4:5], s[20:21], v[30:31]
	v_mov_b32_e32 v7, v15
	v_mov_b32_e32 v25, v22
	;; [unrolled: 1-line block ×3, first 2 shown]
	v_pk_mul_f32 v[12:13], v[20:21], s[22:23]
	v_pk_mul_f32 v[4:5], v[4:5], s[20:21]
	v_pk_add_f32 v[28:29], v[28:29], v[16:17]
	v_pk_fma_f32 v[34:35], v[20:21], s[22:23], v[26:27]
	v_pk_add_f32 v[6:7], v[6:7], v[16:17] neg_lo:[0,1] neg_hi:[0,1]
	v_pk_add_f32 v[10:11], v[24:25], v[10:11] neg_lo:[0,1] neg_hi:[0,1]
	v_mov_b32_e32 v15, v31
	v_mov_b32_e32 v16, v12
	;; [unrolled: 1-line block ×6, first 2 shown]
	v_pk_fma_f32 v[16:17], v[6:7], s[18:19], v[16:17] op_sel_hi:[1,0,1] neg_lo:[1,0,1] neg_hi:[1,0,1]
	v_pk_fma_f32 v[4:5], v[10:11], s[16:17], v[30:31] op_sel_hi:[1,0,1] neg_lo:[0,0,1] neg_hi:[0,0,1]
	;; [unrolled: 1-line block ×4, first 2 shown]
	v_pk_add_f32 v[4:5], v[4:5], v[8:9]
	v_pk_fma_f32 v[6:7], v[28:29], s[10:11], v[6:7] op_sel_hi:[1,0,1]
	v_pk_add_f32 v[32:33], v[32:33], v[8:9]
	v_pk_add_f32 v[14:15], v[14:15], v[8:9]
	v_pk_add_f32 v[8:9], v[4:5], v[6:7] neg_lo:[0,1] neg_hi:[0,1]
	v_pk_add_f32 v[4:5], v[4:5], v[6:7]
	v_mov_b32_e32 v6, v8
	v_mov_b32_e32 v7, v5
	v_mul_f32_e32 v217, v219, v180
	v_mov_b32_e32 v219, v204
	ds_write_b64 v228, v[6:7] offset:6336
	v_mov_b32_e32 v6, v158
	v_mov_b32_e32 v7, v182
	;; [unrolled: 1-line block ×4, first 2 shown]
	v_pk_fma_f32 v[16:17], v[28:29], s[10:11], v[16:17] op_sel_hi:[1,0,1]
	v_mov_b32_e32 v5, v9
	v_pk_fma_f32 v[6:7], v[218:219], v[6:7], v[212:213] neg_lo:[0,0,1] neg_hi:[0,0,1]
	v_pk_fma_f32 v[8:9], v[218:219], v[158:159], v[212:213]
	v_pk_fma_f32 v[10:11], v[224:225], v[10:11], v[18:19] neg_lo:[0,0,1] neg_hi:[0,0,1]
	v_pk_fma_f32 v[12:13], v[224:225], v[176:177], v[18:19]
	v_mul_f32_e32 v205, v205, v182
	v_mul_f32_e32 v207, v204, v183
	v_pk_add_f32 v[20:21], v[14:15], v[16:17]
	v_pk_add_f32 v[14:15], v[14:15], v[16:17] neg_lo:[0,1] neg_hi:[0,1]
	v_mov_b32_e32 v9, v7
	v_mov_b32_e32 v13, v11
	;; [unrolled: 1-line block ×8, first 2 shown]
	v_pk_add_f32 v[18:19], v[8:9], v[12:13]
	v_pk_add_f32 v[8:9], v[8:9], v[12:13] neg_lo:[0,1] neg_hi:[0,1]
	v_pk_add_f32 v[12:13], v[204:205], v[206:207]
	v_pk_add_f32 v[20:21], v[216:217], v[220:221]
	ds_write_b64 v228, v[16:17] offset:4392
	ds_write_b64 v228, v[14:15] offset:10224
	v_pk_add_f32 v[14:15], v[254:255], v[2:3]
	v_pk_add_f32 v[16:17], v[254:255], v[2:3] neg_lo:[0,1] neg_hi:[0,1]
	v_mov_b32_e32 v3, v216
	v_mov_b32_e32 v2, v13
	;; [unrolled: 1-line block ×4, first 2 shown]
	v_pk_add_f32 v[22:23], v[2:3], v[22:23] neg_lo:[0,1] neg_hi:[0,1]
	v_mov_b32_e32 v2, v11
	v_mov_b32_e32 v3, v18
	;; [unrolled: 1-line block ×4, first 2 shown]
	v_pk_fma_f32 v[34:35], v[28:29], s[10:11], v[34:35] op_sel_hi:[1,0,1]
	v_pk_add_f32 v[2:3], v[2:3], v[6:7]
	v_pk_add_f32 v[6:7], v[20:21], v[12:13]
	;; [unrolled: 1-line block ×3, first 2 shown]
	v_pk_add_f32 v[32:33], v[32:33], v[34:35] neg_lo:[0,1] neg_hi:[0,1]
	v_mov_b32_e32 v21, v7
	v_mov_b32_e32 v26, v22
	;; [unrolled: 1-line block ×5, first 2 shown]
	ds_write_b64 v228, v[4:5] offset:8280
	v_mov_b32_e32 v5, v33
	v_mov_b32_e32 v33, v165
	;; [unrolled: 1-line block ×3, first 2 shown]
	v_pk_add_f32 v[6:7], v[6:7], v[2:3]
	v_mov_b32_e32 v24, v16
	v_mov_b32_e32 v25, v9
	v_pk_add_f32 v[26:27], v[26:27], v[8:9] neg_lo:[0,1] neg_hi:[0,1]
	v_pk_add_f32 v[30:31], v[30:31], v[20:21] neg_lo:[0,1] neg_hi:[0,1]
	v_mov_b32_e32 v3, v18
	ds_write_b64 v228, v[32:33] offset:12168
	v_pk_add_f32 v[10:11], v[196:197], v[6:7]
	v_pk_add_f32 v[24:25], v[24:25], v[22:23] neg_lo:[0,1] neg_hi:[0,1]
	v_pk_mul_f32 v[26:27], v[26:27], s[14:15]
	v_pk_add_f32 v[28:29], v[8:9], v[22:23]
	v_pk_add_f32 v[32:33], v[12:13], v[2:3] neg_lo:[0,1] neg_hi:[0,1]
	v_pk_mul_f32 v[30:31], v[30:31], s[2:3]
	v_pk_add_f32 v[28:29], v[28:29], v[16:17]
	v_pk_fma_f32 v[6:7], v[6:7], s[24:25], v[10:11] op_sel_hi:[1,0,1] neg_lo:[1,0,0] neg_hi:[1,0,0]
	v_pk_fma_f32 v[2:3], v[32:33], s[20:21], v[30:31]
	v_pk_fma_f32 v[34:35], v[24:25], s[22:23], v[26:27]
	v_pk_add_f32 v[2:3], v[2:3], v[6:7]
	v_pk_fma_f32 v[34:35], v[28:29], s[10:11], v[34:35] op_sel_hi:[1,0,1]
	v_mov_b32_e32 v4, v164
	v_pk_add_f32 v[164:165], v[2:3], v[34:35]
	v_pk_add_f32 v[34:35], v[2:3], v[34:35] neg_lo:[0,1] neg_hi:[0,1]
	v_mov_b32_e32 v2, v164
	v_mov_b32_e32 v3, v35
	v_add_u32_e32 v224, 0x800, v228
	ds_write_b64 v228, v[10:11] offset:1008
	ds_write2_b64 v224, v[4:5], v[2:3] offset0:50 offset1:113
	v_pk_mul_f32 v[2:3], v[244:245], v[152:153]
	v_mov_b32_e32 v4, v243
	v_mov_b32_e32 v2, v3
	v_pk_fma_f32 v[2:3], v[4:5], v[152:153], v[2:3] neg_lo:[0,0,1] neg_hi:[0,0,1]
	v_mov_b32_e32 v4, v47
	v_mov_b32_e32 v10, v194
	;; [unrolled: 1-line block ×5, first 2 shown]
	v_pk_fma_f32 v[4:5], v[0:1], v[154:155], v[4:5]
	v_mov_b32_e32 v0, v195
	v_mov_b32_e32 v1, v162
	v_pk_mul_f32 v[10:11], v[250:251], v[10:11]
	v_mov_b32_e32 v196, v36
	v_mov_b32_e32 v197, v152
	v_pk_mul_f32 v[198:199], v[242:243], v[198:199]
	v_pk_fma_f32 v[192:193], v[246:247], v[0:1], v[10:11]
	v_pk_fma_f32 v[10:11], v[246:247], v[0:1], v[10:11] neg_lo:[0,0,1] neg_hi:[0,0,1]
	v_pk_mul_f32 v[0:1], v[246:247], v[162:163]
	v_pk_fma_f32 v[202:203], v[244:245], v[196:197], v[198:199]
	v_pk_fma_f32 v[198:199], v[244:245], v[196:197], v[198:199] neg_lo:[0,0,1] neg_hi:[0,0,1]
	v_mov_b32_e32 v231, v244
	v_mov_b32_e32 v196, v155
	v_mov_b32_e32 v197, v37
	v_mov_b32_e32 v0, v1
	v_mov_b32_e32 v22, v251
	v_pk_mul_f32 v[196:197], v[230:231], v[196:197]
	v_mov_b32_e32 v204, v154
	v_mov_b32_e32 v205, v36
	;; [unrolled: 1-line block ×3, first 2 shown]
	v_pk_fma_f32 v[0:1], v[22:23], v[162:163], v[0:1] neg_lo:[0,0,1] neg_hi:[0,0,1]
	v_pk_fma_f32 v[200:201], v[200:201], v[204:205], v[196:197] neg_lo:[0,0,1] neg_hi:[0,0,1]
	v_pk_fma_f32 v[204:205], v[8:9], v[36:37], v[196:197] op_sel:[0,1,0] op_sel_hi:[1,0,1]
	v_mov_b32_e32 v9, v250
	v_pk_fma_f32 v[206:207], v[8:9], v[194:195], v[238:239]
	v_mov_b32_e32 v196, v203
	v_mov_b32_e32 v197, v2
	;; [unrolled: 1-line block ×5, first 2 shown]
	v_pk_add_f32 v[2:3], v[2:3], v[0:1]
	v_pk_add_f32 v[0:1], v[196:197], v[192:193] neg_lo:[0,1] neg_hi:[0,1]
	v_pk_add_f32 v[192:193], v[4:5], v[236:237]
	v_mov_b32_e32 v5, v200
	v_mov_b32_e32 v237, v166
	v_mov_b32_e32 v201, v205
	v_mov_b32_e32 v167, v207
	v_mov_b32_e32 v199, v203
	v_pk_add_f32 v[196:197], v[4:5], v[236:237] neg_lo:[0,1] neg_hi:[0,1]
	v_pk_add_f32 v[4:5], v[200:201], v[166:167]
	v_mov_b32_e32 v166, v207
	v_mov_b32_e32 v167, v10
	;; [unrolled: 1-line block ×4, first 2 shown]
	v_pk_add_f32 v[10:11], v[198:199], v[10:11]
	v_pk_add_f32 v[166:167], v[166:167], v[200:201] neg_lo:[0,1] neg_hi:[0,1]
	v_mov_b32_e32 v199, v1
	v_mov_b32_e32 v198, v166
	;; [unrolled: 1-line block ×5, first 2 shown]
	v_pk_add_f32 v[208:209], v[10:11], v[4:5] neg_lo:[0,1] neg_hi:[0,1]
	v_mov_b32_e32 v11, v192
	v_mov_b32_e32 v207, v192
	;; [unrolled: 1-line block ×4, first 2 shown]
	v_pk_add_f32 v[204:205], v[198:199], v[200:201] neg_lo:[0,1] neg_hi:[0,1]
	v_mov_b32_e32 v198, v0
	v_mov_b32_e32 v199, v167
	v_pk_add_f32 v[200:201], v[166:167], v[196:197]
	v_mov_b32_e32 v167, v197
	v_pk_add_f32 v[192:193], v[4:5], v[10:11] neg_lo:[0,1] neg_hi:[0,1]
	v_mov_b32_e32 v11, v5
	v_pk_add_f32 v[4:5], v[206:207], v[2:3]
	v_pk_add_f32 v[166:167], v[198:199], v[166:167] neg_lo:[0,1] neg_hi:[0,1]
	v_pk_add_f32 v[4:5], v[10:11], v[4:5]
	v_pk_mul_f32 v[198:199], v[192:193], s[20:21]
	v_pk_add_f32 v[210:211], v[38:39], v[4:5]
	v_pk_mul_f32 v[202:203], v[166:167], s[22:23]
	v_pk_add_f32 v[212:213], v[200:201], v[0:1]
	v_pk_fma_f32 v[200:201], v[4:5], s[24:25], v[210:211] op_sel_hi:[1,0,1] neg_lo:[1,0,0] neg_hi:[1,0,0]
	v_pk_fma_f32 v[4:5], v[208:209], s[2:3], v[198:199]
	v_pk_fma_f32 v[10:11], v[204:205], s[14:15], v[202:203]
	v_pk_add_f32 v[4:5], v[4:5], v[200:201]
	v_pk_fma_f32 v[10:11], v[212:213], s[10:11], v[10:11] op_sel_hi:[1,0,1]
	v_mov_b32_e32 v9, v23
	v_mov_b32_e32 v21, v18
	;; [unrolled: 1-line block ×3, first 2 shown]
	v_pk_add_f32 v[214:215], v[4:5], v[10:11]
	v_pk_add_f32 v[216:217], v[4:5], v[10:11] neg_lo:[0,1] neg_hi:[0,1]
	v_pk_add_f32 v[4:5], v[8:9], v[16:17] neg_lo:[0,1] neg_hi:[0,1]
	;; [unrolled: 1-line block ×3, first 2 shown]
	v_pk_mul_f32 v[10:11], v[24:25], s[22:23]
	v_pk_mul_f32 v[12:13], v[32:33], s[20:21]
	v_mov_b32_e32 v15, v31
	v_mov_b32_e32 v14, v12
	;; [unrolled: 1-line block ×6, first 2 shown]
	v_pk_fma_f32 v[14:15], v[8:9], s[16:17], v[14:15] op_sel_hi:[1,0,1] neg_lo:[1,0,1] neg_hi:[1,0,1]
	v_pk_fma_f32 v[16:17], v[4:5], s[18:19], v[16:17] op_sel_hi:[1,0,1] neg_lo:[1,0,1] neg_hi:[1,0,1]
	v_pk_fma_f32 v[8:9], v[8:9], s[16:17], v[30:31] op_sel_hi:[1,0,1] neg_lo:[0,0,1] neg_hi:[0,0,1]
	v_pk_fma_f32 v[4:5], v[4:5], s[18:19], v[26:27] op_sel_hi:[1,0,1] neg_lo:[0,0,1] neg_hi:[0,0,1]
	v_pk_add_f32 v[14:15], v[14:15], v[6:7]
	v_pk_fma_f32 v[16:17], v[28:29], s[10:11], v[16:17] op_sel_hi:[1,0,1]
	v_pk_add_f32 v[6:7], v[8:9], v[6:7]
	v_pk_fma_f32 v[4:5], v[28:29], s[10:11], v[4:5] op_sel_hi:[1,0,1]
	v_mov_b32_e32 v41, v59
	v_mov_b32_e32 v37, v55
	v_pk_add_f32 v[18:19], v[14:15], v[16:17]
	v_pk_add_f32 v[14:15], v[14:15], v[16:17] neg_lo:[0,1] neg_hi:[0,1]
	v_pk_add_f32 v[8:9], v[6:7], v[4:5] neg_lo:[0,1] neg_hi:[0,1]
	v_pk_add_f32 v[4:5], v[6:7], v[4:5]
	v_mov_b32_e32 v42, v60
	v_mov_b32_e32 v38, v56
	;; [unrolled: 1-line block ×11, first 2 shown]
	v_accvgpr_read_b32 v250, a80
	v_accvgpr_read_b32 v251, a80
	v_mov_b32_e32 v44, v45
	v_mov_b32_e32 v47, v46
	;; [unrolled: 1-line block ×10, first 2 shown]
	v_accvgpr_mov_b32 a80, a64
	v_accvgpr_write_b32 a64, v116
	v_mov_b32_e32 v116, v117
	v_accvgpr_write_b32 a138, v216
	v_accvgpr_write_b32 a139, v215
	ds_write_b64 v228, v[16:17] offset:4896
	ds_write_b64 v228, v[6:7] offset:6840
	;; [unrolled: 1-line block ×5, first 2 shown]
	s_and_saveexec_b64 s[20:21], vcc
	s_cbranch_execz .LBB0_7
; %bb.6:
	v_pk_mul_f32 v[4:5], v[208:209], s[2:3]
	v_pk_mul_f32 v[8:9], v[204:205], s[14:15]
	v_mov_b32_e32 v215, v217
	v_add_u32_e32 v10, 0x5c0, v228
	ds_write2_b64 v10, v[210:211], v[214:215] offset0:5 offset1:248
	v_mov_b32_e32 v10, v198
	v_mov_b32_e32 v11, v5
	v_pk_add_f32 v[2:3], v[206:207], v[2:3] neg_lo:[0,1] neg_hi:[0,1]
	v_pk_add_f32 v[0:1], v[196:197], v[0:1] neg_lo:[0,1] neg_hi:[0,1]
	v_mov_b32_e32 v12, v202
	v_mov_b32_e32 v13, v9
	;; [unrolled: 1-line block ×4, first 2 shown]
	v_pk_mul_f32 v[6:7], v[212:213], s[10:11] op_sel_hi:[1,0]
	v_pk_fma_f32 v[10:11], v[2:3], s[16:17], v[10:11] op_sel_hi:[1,0,1] neg_lo:[1,0,1] neg_hi:[1,0,1]
	v_pk_fma_f32 v[12:13], v[0:1], s[18:19], v[12:13] op_sel_hi:[1,0,1] neg_lo:[1,0,1] neg_hi:[1,0,1]
	;; [unrolled: 1-line block ×4, first 2 shown]
	v_pk_add_f32 v[10:11], v[10:11], v[200:201]
	v_pk_add_f32 v[12:13], v[6:7], v[12:13]
	;; [unrolled: 1-line block ×5, first 2 shown]
	v_pk_add_f32 v[10:11], v[10:11], v[12:13] neg_lo:[0,1] neg_hi:[0,1]
	v_pk_add_f32 v[4:5], v[2:3], v[0:1] neg_lo:[0,1] neg_hi:[0,1]
	v_pk_add_f32 v[0:1], v[2:3], v[0:1]
	v_mov_b32_e32 v12, v14
	v_mov_b32_e32 v13, v11
	;; [unrolled: 1-line block ×4, first 2 shown]
	v_add_u32_e32 v1, 0x1500, v228
	ds_write2_b64 v1, v[12:13], v[2:3] offset0:3 offset1:246
	v_mov_b32_e32 v1, v5
	v_mov_b32_e32 v11, v15
	v_add_u32_e32 v2, 0x2400, v228
	ds_write2_b64 v2, v[0:1], v[10:11] offset0:9 offset1:252
	ds_write_b64 v228, a[138:139] offset:13176
.LBB0_7:
	s_or_b64 exec, exec, s[20:21]
	v_lshlrev_b32_e32 v0, 3, v252
	v_mov_b32_e32 v1, 0
	v_lshl_add_u64 v[200:201], s[8:9], 0, v[0:1]
	s_movk_i32 s2, 0x3000
	v_add_co_u32_e64 v0, s[2:3], s2, v200
	s_waitcnt lgkmcnt(0)
	s_nop 0
	v_addc_co_u32_e64 v1, s[2:3], 0, v201, s[2:3]
	; wave barrier
	global_load_dwordx2 v[4:5], v[0:1], off offset:1320
	s_movk_i32 s2, 0x4000
	v_add_co_u32_e64 v198, s[2:3], s2, v200
	v_add_u32_e32 v212, 0x2000, v228
	s_nop 0
	v_addc_co_u32_e64 v199, s[2:3], 0, v201, s[2:3]
	global_load_dwordx2 v[196:197], v[198:199], off offset:1760
	global_load_dwordx2 v[206:207], v[198:199], off offset:2264
	;; [unrolled: 1-line block ×3, first 2 shown]
	ds_read2_b64 v[0:3], v228 offset1:63
	s_mov_b64 s[2:3], 0x3528
	v_lshl_add_u64 v[208:209], v[200:201], 0, s[2:3]
	s_movk_i32 s2, 0x5000
	v_add_u32_e32 v213, 0x1000, v228
	v_add_u32_e32 v229, 0x1400, v228
	v_add_u32_e32 v253, 0x400, v228
	v_mov_b32_e32 v192, v224
	s_waitcnt vmcnt(3) lgkmcnt(0)
	v_mul_f32_e32 v6, v1, v5
	v_mul_f32_e32 v7, v0, v5
	v_fma_f32 v6, v0, v4, -v6
	v_fmac_f32_e32 v7, v1, v4
	global_load_dwordx2 v[0:1], v[208:209], off offset:504
	global_load_dwordx2 v[4:5], v[208:209], off offset:1008
	;; [unrolled: 1-line block ×4, first 2 shown]
	ds_write_b64 v228, v[6:7]
	s_waitcnt vmcnt(3)
	v_mul_f32_e32 v10, v3, v1
	v_fma_f32 v202, v2, v0, -v10
	v_mul_f32_e32 v203, v2, v1
	v_add_co_u32_e64 v2, s[2:3], s2, v200
	v_fmac_f32_e32 v203, v3, v0
	s_nop 0
	v_addc_co_u32_e64 v3, s[2:3], 0, v201, s[2:3]
	global_load_dwordx2 v[6:7], v[2:3], off offset:2200
	global_load_dwordx2 v[10:11], v[2:3], off offset:2704
	;; [unrolled: 1-line block ×3, first 2 shown]
	ds_read2_b64 v[214:217], v212 offset0:110 offset1:173
	s_movk_i32 s2, 0x6000
	s_waitcnt vmcnt(2) lgkmcnt(0)
	v_mul_f32_e32 v12, v215, v7
	v_mul_f32_e32 v13, v214, v7
	v_fma_f32 v12, v214, v6, -v12
	v_fmac_f32_e32 v13, v215, v6
	s_waitcnt vmcnt(1)
	v_mul_f32_e32 v6, v217, v11
	v_mul_f32_e32 v7, v216, v11
	v_fma_f32 v6, v216, v10, -v6
	v_fmac_f32_e32 v7, v217, v10
	ds_read2_b64 v[214:217], v213 offset0:118 offset1:181
	s_waitcnt lgkmcnt(0)
	v_mul_f32_e32 v10, v215, v207
	v_mul_f32_e32 v11, v214, v207
	;; [unrolled: 1-line block ×4, first 2 shown]
	v_fma_f32 v10, v214, v206, -v10
	v_fmac_f32_e32 v11, v215, v206
	v_fma_f32 v14, v216, v204, -v14
	v_fmac_f32_e32 v15, v217, v204
	ds_read2_b64 v[204:207], v228 offset0:126 offset1:189
	s_waitcnt lgkmcnt(0)
	v_mul_f32_e32 v16, v205, v5
	v_mul_f32_e32 v17, v204, v5
	v_fma_f32 v16, v204, v4, -v16
	v_fmac_f32_e32 v17, v205, v4
	v_mul_f32_e32 v4, v207, v9
	v_mul_f32_e32 v5, v206, v9
	v_fma_f32 v4, v206, v8, -v4
	v_fmac_f32_e32 v5, v207, v8
	v_add_co_u32_e64 v8, s[2:3], s2, v200
	v_add_u32_e32 v200, 0x2400, v228
	s_nop 0
	v_addc_co_u32_e64 v9, s[2:3], 0, v201, s[2:3]
	global_load_dwordx2 v[18:19], v[2:3], off offset:3208
	global_load_dwordx2 v[20:21], v[2:3], off offset:3712
	global_load_dwordx2 v[22:23], v[8:9], off offset:120
	global_load_dwordx2 v[24:25], v[8:9], off offset:624
	ds_read2_b64 v[204:207], v200 offset0:108 offset1:171
	v_add_u32_e32 v201, 0x2800, v228
	s_mov_b32 s2, 0x3f5db3d7
	s_waitcnt vmcnt(3) lgkmcnt(0)
	v_mul_f32_e32 v26, v205, v19
	v_mul_f32_e32 v27, v204, v19
	v_fma_f32 v26, v204, v18, -v26
	v_fmac_f32_e32 v27, v205, v18
	s_waitcnt vmcnt(2)
	v_mul_f32_e32 v18, v207, v21
	v_mul_f32_e32 v19, v206, v21
	v_fma_f32 v18, v206, v20, -v18
	v_fmac_f32_e32 v19, v207, v20
	global_load_dwordx2 v[20:21], v[198:199], off offset:3272
	global_load_dwordx2 v[28:29], v[198:199], off offset:3776
	;; [unrolled: 1-line block ×4, first 2 shown]
	ds_read2_b64 v[214:217], v229 offset0:116 offset1:179
	ds_read2_b64 v[220:223], v253 offset0:124 offset1:187
	v_add_u32_e32 v204, 0x1800, v228
	v_add_u32_e32 v205, 0xc00, v228
	s_waitcnt vmcnt(3) lgkmcnt(1)
	v_mul_f32_e32 v34, v215, v21
	v_mul_f32_e32 v35, v214, v21
	v_fma_f32 v34, v214, v20, -v34
	v_fmac_f32_e32 v35, v215, v20
	s_waitcnt vmcnt(2)
	v_mul_f32_e32 v20, v217, v29
	v_mul_f32_e32 v21, v216, v29
	v_fma_f32 v20, v216, v28, -v20
	v_fmac_f32_e32 v21, v217, v28
	global_load_dwordx2 v[164:165], v[208:209], off offset:2520
	global_load_dwordx2 v[198:199], v[208:209], off offset:3024
	;; [unrolled: 1-line block ×4, first 2 shown]
	s_waitcnt lgkmcnt(0)
	v_mul_f32_e32 v28, v221, v211
	v_mul_f32_e32 v29, v220, v211
	v_fma_f32 v28, v220, v210, -v28
	v_fmac_f32_e32 v29, v221, v210
	ds_read2_b64 v[208:211], v201 offset0:106 offset1:169
	s_waitcnt vmcnt(3)
	v_mul_f32_e32 v166, v223, v165
	v_mul_f32_e32 v219, v222, v165
	v_fma_f32 v218, v222, v164, -v166
	v_fmac_f32_e32 v219, v223, v164
	s_waitcnt lgkmcnt(0)
	v_mul_f32_e32 v164, v209, v23
	v_mul_f32_e32 v165, v208, v23
	v_fma_f32 v164, v208, v22, -v164
	v_fmac_f32_e32 v165, v209, v22
	v_mul_f32_e32 v22, v211, v25
	v_mul_f32_e32 v23, v210, v25
	v_fma_f32 v22, v210, v24, -v22
	v_fmac_f32_e32 v23, v211, v24
	ds_read2_b64 v[208:211], v204 offset0:114 offset1:177
	s_waitcnt lgkmcnt(0)
	v_mul_f32_e32 v24, v209, v31
	v_mul_f32_e32 v25, v208, v31
	v_fma_f32 v24, v208, v30, -v24
	v_fmac_f32_e32 v25, v209, v30
	v_mul_f32_e32 v30, v211, v33
	v_mul_f32_e32 v31, v210, v33
	v_fma_f32 v30, v210, v32, -v30
	v_fmac_f32_e32 v31, v211, v32
	ds_read2_b64 v[208:211], v224 offset0:122 offset1:185
	s_waitcnt vmcnt(2) lgkmcnt(0)
	v_mul_f32_e32 v33, v208, v199
	v_mul_f32_e32 v32, v209, v199
	v_fmac_f32_e32 v33, v209, v198
	s_waitcnt vmcnt(1)
	v_mul_f32_e32 v166, v211, v207
	v_mul_f32_e32 v209, v210, v207
	v_fma_f32 v32, v208, v198, -v32
	v_fma_f32 v208, v210, v206, -v166
	v_fmac_f32_e32 v209, v211, v206
	global_load_dwordx2 v[198:199], v[8:9], off offset:1128
	global_load_dwordx2 v[206:207], v[8:9], off offset:1632
	s_nop 0
	global_load_dwordx2 v[8:9], v[8:9], off offset:2136
	v_add_u32_e32 v211, 0x2c00, v228
	global_load_dwordx2 v[2:3], v[2:3], off offset:1192
	ds_read2_b64 v[220:223], v211 offset0:104 offset1:167
	v_add_u32_e32 v210, 0x1c00, v228
	s_waitcnt vmcnt(3) lgkmcnt(0)
	v_mul_f32_e32 v166, v221, v199
	v_fma_f32 v224, v220, v198, -v166
	v_mul_f32_e32 v225, v220, v199
	s_waitcnt vmcnt(2)
	v_mul_f32_e32 v166, v223, v207
	v_mul_f32_e32 v227, v222, v207
	v_fmac_f32_e32 v225, v221, v198
	v_fma_f32 v226, v222, v206, -v166
	v_fmac_f32_e32 v227, v223, v206
	ds_read2_b64 v[220:223], v205 offset0:120 offset1:183
	s_waitcnt lgkmcnt(0)
	v_mul_f32_e32 v166, v223, v197
	v_mul_f32_e32 v207, v222, v197
	v_fma_f32 v206, v222, v196, -v166
	v_fmac_f32_e32 v207, v223, v196
	ds_read2_b64 v[196:199], v210 offset0:112 offset1:175
	v_mul_f32_e32 v166, v221, v217
	v_fma_f32 v222, v220, v216, -v166
	v_mul_f32_e32 v223, v220, v217
	v_fmac_f32_e32 v223, v221, v216
	s_waitcnt vmcnt(0) lgkmcnt(0)
	v_mul_f32_e32 v166, v197, v3
	v_mul_f32_e32 v217, v196, v3
	v_fma_f32 v216, v196, v2, -v166
	v_fmac_f32_e32 v217, v197, v2
	v_mul_f32_e32 v2, v199, v1
	v_mul_f32_e32 v3, v198, v1
	v_fma_f32 v2, v198, v0, -v2
	v_fmac_f32_e32 v3, v199, v0
	ds_read_b64 v[0:1], v228 offset:13104
	s_waitcnt lgkmcnt(0)
	v_mul_f32_e32 v166, v1, v9
	v_mul_f32_e32 v197, v0, v9
	v_fma_f32 v196, v0, v8, -v166
	v_fmac_f32_e32 v197, v1, v8
	v_add_u32_e32 v0, 0x3000, v228
	ds_write2_b64 v0, v[226:227], v[196:197] offset0:39 offset1:102
	ds_write2_b64 v213, v[206:207], v[10:11] offset0:55 offset1:118
	;; [unrolled: 1-line block ×13, first 2 shown]
	s_waitcnt lgkmcnt(0)
	; wave barrier
	s_waitcnt lgkmcnt(0)
	ds_read2_b64 v[0:3], v212 offset0:110 offset1:173
	ds_read2_b64 v[196:199], v205 offset0:120 offset1:183
	ds_read2_b64 v[220:223], v228 offset1:63
	s_waitcnt lgkmcnt(1)
	v_pk_add_f32 v[4:5], v[198:199], v[0:1]
	v_pk_add_f32 v[6:7], v[198:199], v[0:1] neg_lo:[0,1] neg_hi:[0,1]
	s_waitcnt lgkmcnt(0)
	v_pk_fma_f32 v[4:5], v[4:5], 0.5, v[220:221] op_sel_hi:[1,0,1] neg_lo:[1,0,0] neg_hi:[1,0,0]
	v_pk_mul_f32 v[6:7], v[6:7], s[2:3] op_sel_hi:[1,0]
	s_nop 0
	v_pk_add_f32 v[12:13], v[4:5], v[6:7] op_sel:[0,1] op_sel_hi:[1,0] neg_lo:[0,1] neg_hi:[0,1]
	v_pk_add_f32 v[14:15], v[4:5], v[6:7] op_sel:[0,1] op_sel_hi:[1,0]
	v_pk_add_f32 v[4:5], v[220:221], v[198:199]
	v_mov_b32_e32 v18, v12
	v_pk_add_f32 v[0:1], v[4:5], v[0:1]
	ds_read_b64 v[16:17], v228 offset:13104
	ds_read2_b64 v[224:227], v213 offset0:118 offset1:181
	ds_read2_b64 v[230:233], v228 offset0:126 offset1:189
	;; [unrolled: 1-line block ×10, first 2 shown]
	s_waitcnt lgkmcnt(0)
	; wave barrier
	s_waitcnt lgkmcnt(0)
	scratch_load_dword v12, off, off offset:32 ; 4-byte Folded Reload
	v_mov_b32_e32 v19, v15
	v_mov_b32_e32 v15, v13
	s_waitcnt vmcnt(0)
	ds_write2_b64 v12, v[0:1], v[18:19] offset1:1
	ds_write_b64 v12, v[14:15] offset:16
	v_pk_add_f32 v[12:13], v[222:223], v[224:225]
	v_pk_add_f32 v[0:1], v[224:225], v[2:3]
	;; [unrolled: 1-line block ×3, first 2 shown]
	v_pk_add_f32 v[2:3], v[224:225], v[2:3] neg_lo:[0,1] neg_hi:[0,1]
	v_pk_fma_f32 v[0:1], v[0:1], 0.5, v[222:223] op_sel_hi:[1,0,1] neg_lo:[1,0,0] neg_hi:[1,0,0]
	v_pk_mul_f32 v[2:3], v[2:3], s[2:3] op_sel_hi:[1,0]
	s_nop 0
	v_pk_add_f32 v[14:15], v[0:1], v[2:3] op_sel:[0,1] op_sel_hi:[1,0] neg_lo:[0,1] neg_hi:[0,1]
	v_pk_add_f32 v[0:1], v[0:1], v[2:3] op_sel:[0,1] op_sel_hi:[1,0]
	v_mov_b32_e32 v2, v14
	scratch_load_dword v14, off, off offset:28 ; 4-byte Folded Reload
	v_mov_b32_e32 v3, v1
	v_mov_b32_e32 v1, v15
	s_waitcnt vmcnt(0)
	ds_write2_b64 v14, v[12:13], v[2:3] offset1:1
	v_pk_add_f32 v[2:3], v[226:227], v[234:235]
	v_pk_add_f32 v[12:13], v[226:227], v[234:235] neg_lo:[0,1] neg_hi:[0,1]
	v_pk_fma_f32 v[2:3], v[2:3], 0.5, v[230:231] op_sel_hi:[1,0,1] neg_lo:[1,0,0] neg_hi:[1,0,0]
	v_pk_mul_f32 v[12:13], v[12:13], s[2:3] op_sel_hi:[1,0]
	ds_write_b64 v14, v[0:1] offset:16
	v_pk_add_f32 v[14:15], v[2:3], v[12:13] op_sel:[0,1] op_sel_hi:[1,0] neg_lo:[0,1] neg_hi:[0,1]
	v_pk_add_f32 v[2:3], v[2:3], v[12:13] op_sel:[0,1] op_sel_hi:[1,0]
	v_mov_b32_e32 v12, v14
	scratch_load_dword v14, off, off offset:20 ; 4-byte Folded Reload
	v_pk_add_f32 v[0:1], v[230:231], v[226:227]
	v_mov_b32_e32 v13, v3
	v_pk_add_f32 v[0:1], v[0:1], v[234:235]
	v_mov_b32_e32 v3, v15
	s_waitcnt vmcnt(0)
	ds_write2_b64 v14, v[0:1], v[12:13] offset1:1
	v_pk_add_f32 v[0:1], v[238:239], v[236:237]
	v_pk_add_f32 v[12:13], v[238:239], v[236:237] neg_lo:[0,1] neg_hi:[0,1]
	v_pk_fma_f32 v[0:1], v[0:1], 0.5, v[232:233] op_sel_hi:[1,0,1] neg_lo:[1,0,0] neg_hi:[1,0,0]
	v_pk_mul_f32 v[12:13], v[12:13], s[2:3] op_sel_hi:[1,0]
	ds_write_b64 v14, v[2:3] offset:16
	v_pk_add_f32 v[14:15], v[0:1], v[12:13] op_sel:[0,1] op_sel_hi:[1,0] neg_lo:[0,1] neg_hi:[0,1]
	v_pk_add_f32 v[0:1], v[0:1], v[12:13] op_sel:[0,1] op_sel_hi:[1,0]
	v_mov_b32_e32 v12, v14
	scratch_load_dword v14, off, off offset:24 ; 4-byte Folded Reload
	v_pk_add_f32 v[2:3], v[232:233], v[238:239]
	v_mov_b32_e32 v13, v1
	v_pk_add_f32 v[2:3], v[2:3], v[236:237]
	;; [unrolled: 15-line block ×4, first 2 shown]
	v_mov_b32_e32 v1, v15
	s_waitcnt vmcnt(0)
	ds_write2_b64 v14, v[2:3], v[12:13] offset1:1
	v_pk_add_f32 v[2:3], v[218:219], v[206:207]
	v_pk_add_f32 v[12:13], v[218:219], v[206:207] neg_lo:[0,1] neg_hi:[0,1]
	ds_write_b64 v14, v[0:1] offset:16
	v_pk_add_f32 v[0:1], v[4:5], v[218:219]
	v_pk_fma_f32 v[2:3], v[2:3], 0.5, v[4:5] op_sel_hi:[1,0,1] neg_lo:[1,0,0] neg_hi:[1,0,0]
	v_pk_mul_f32 v[4:5], v[12:13], s[2:3] op_sel_hi:[1,0]
	v_pk_add_f32 v[0:1], v[0:1], v[206:207]
	v_pk_add_f32 v[12:13], v[2:3], v[4:5] op_sel:[0,1] op_sel_hi:[1,0] neg_lo:[0,1] neg_hi:[0,1]
	v_pk_add_f32 v[2:3], v[2:3], v[4:5] op_sel:[0,1] op_sel_hi:[1,0]
	v_mov_b32_e32 v4, v12
	scratch_load_dword v12, off, off offset:8 ; 4-byte Folded Reload
	v_mov_b32_e32 v5, v3
	v_mov_b32_e32 v3, v13
	s_waitcnt vmcnt(0)
	ds_write2_b64 v12, v[0:1], v[4:5] offset1:1
	v_pk_add_f32 v[0:1], v[8:9], v[208:209]
	v_pk_add_f32 v[4:5], v[8:9], v[208:209] neg_lo:[0,1] neg_hi:[0,1]
	v_pk_fma_f32 v[0:1], v[0:1], 0.5, v[6:7] op_sel_hi:[1,0,1] neg_lo:[1,0,0] neg_hi:[1,0,0]
	v_pk_mul_f32 v[4:5], v[4:5], s[2:3] op_sel_hi:[1,0]
	ds_write_b64 v12, v[2:3] offset:16
	v_pk_add_f32 v[2:3], v[6:7], v[8:9]
	v_pk_add_f32 v[6:7], v[0:1], v[4:5] op_sel:[0,1] op_sel_hi:[1,0] neg_lo:[0,1] neg_hi:[0,1]
	v_pk_add_f32 v[0:1], v[0:1], v[4:5] op_sel:[0,1] op_sel_hi:[1,0]
	v_mov_b32_e32 v4, v6
	scratch_load_dword v6, off, off offset:4 ; 4-byte Folded Reload
	v_pk_add_f32 v[2:3], v[2:3], v[208:209]
	v_mov_b32_e32 v5, v1
	v_mov_b32_e32 v1, v7
	v_accvgpr_read_b32 v12, a56
	v_accvgpr_read_b32 v14, a58
	v_accvgpr_read_b32 v15, a59
	v_accvgpr_read_b32 v13, a57
	s_waitcnt vmcnt(0)
	ds_write2_b64 v6, v[2:3], v[4:5] offset1:1
	ds_write_b64 v6, v[0:1] offset:16
	v_pk_add_f32 v[0:1], v[10:11], v[16:17]
	v_pk_add_f32 v[4:5], v[10:11], v[16:17] neg_lo:[0,1] neg_hi:[0,1]
	v_pk_fma_f32 v[0:1], v[0:1], 0.5, v[196:197] op_sel_hi:[1,0,1] neg_lo:[1,0,0] neg_hi:[1,0,0]
	v_pk_mul_f32 v[4:5], v[4:5], s[2:3] op_sel_hi:[1,0]
	v_pk_add_f32 v[2:3], v[196:197], v[10:11]
	v_pk_add_f32 v[6:7], v[0:1], v[4:5] op_sel:[0,1] op_sel_hi:[1,0] neg_lo:[0,1] neg_hi:[0,1]
	v_pk_add_f32 v[0:1], v[0:1], v[4:5] op_sel:[0,1] op_sel_hi:[1,0]
	v_mov_b32_e32 v4, v6
	scratch_load_dword v6, off, off         ; 4-byte Folded Reload
	v_pk_add_f32 v[2:3], v[2:3], v[16:17]
	v_mov_b32_e32 v5, v1
	v_mov_b32_e32 v1, v7
	v_accvgpr_read_b32 v8, a118
	v_accvgpr_read_b32 v10, a120
	;; [unrolled: 1-line block ×6, first 2 shown]
	s_waitcnt vmcnt(0)
	ds_write2_b64 v6, v[2:3], v[4:5] offset1:1
	ds_write_b64 v6, v[0:1] offset:16
	s_waitcnt lgkmcnt(0)
	; wave barrier
	s_waitcnt lgkmcnt(0)
	ds_read_b64 v[2:3], v228 offset:13104
	v_accvgpr_read_b32 v0, a140
	v_accvgpr_read_b32 v1, a141
	s_waitcnt lgkmcnt(0)
	v_pk_mul_f32 v[4:5], v[0:1], v[2:3]
	s_nop 0
	v_pk_fma_f32 v[0:1], v[10:11], v[2:3], v[4:5] op_sel:[0,0,1] op_sel_hi:[1,1,0]
	v_pk_fma_f32 v[34:35], v[10:11], v[2:3], v[4:5] op_sel:[0,0,1] op_sel_hi:[1,1,0] neg_lo:[0,0,1] neg_hi:[0,0,1]
	ds_read2_b64 v[4:7], v210 offset0:112 offset1:175
	v_accvgpr_read_b32 v10, a128
	v_accvgpr_read_b32 v11, a129
	s_waitcnt lgkmcnt(0)
	v_pk_mul_f32 v[8:9], v[8:9], v[6:7]
	s_nop 0
	v_pk_fma_f32 v[2:3], v[10:11], v[6:7], v[8:9] op_sel:[0,0,1] op_sel_hi:[1,1,0]
	v_pk_fma_f32 v[32:33], v[10:11], v[6:7], v[8:9] op_sel:[0,0,1] op_sel_hi:[1,1,0] neg_lo:[0,0,1] neg_hi:[0,0,1]
	v_accvgpr_read_b32 v8, a112
	v_accvgpr_read_b32 v9, a113
	v_pk_mul_f32 v[6:7], v[8:9], v[4:5]
	v_accvgpr_read_b32 v8, a126
	v_accvgpr_read_b32 v9, a127
	v_pk_fma_f32 v[28:29], v[8:9], v[4:5], v[6:7] op_sel:[0,0,1] op_sel_hi:[1,1,0]
	v_pk_fma_f32 v[198:199], v[8:9], v[4:5], v[6:7] op_sel:[0,0,1] op_sel_hi:[1,1,0] neg_lo:[0,0,1] neg_hi:[0,0,1]
	ds_read2_b64 v[4:7], v211 offset0:104 offset1:167
	v_accvgpr_read_b32 v8, a124
	v_accvgpr_read_b32 v9, a125
	v_accvgpr_read_b32 v10, a114
	v_accvgpr_read_b32 v11, a115
	s_waitcnt lgkmcnt(0)
	v_pk_mul_f32 v[8:9], v[8:9], v[6:7]
	v_mov_b32_e32 v29, v199
	v_pk_fma_f32 v[196:197], v[10:11], v[6:7], v[8:9] op_sel:[0,0,1] op_sel_hi:[1,1,0]
	v_pk_fma_f32 v[22:23], v[10:11], v[6:7], v[8:9] op_sel:[0,0,1] op_sel_hi:[1,1,0] neg_lo:[0,0,1] neg_hi:[0,0,1]
	v_accvgpr_read_b32 v6, a122
	v_accvgpr_read_b32 v7, a123
	v_accvgpr_read_b32 v8, a104
	v_pk_mul_f32 v[6:7], v[6:7], v[4:5]
	v_accvgpr_read_b32 v10, a106
	v_accvgpr_read_b32 v11, a107
	v_pk_fma_f32 v[24:25], v[10:11], v[4:5], v[6:7] op_sel:[0,0,1] op_sel_hi:[1,1,0]
	v_pk_fma_f32 v[26:27], v[10:11], v[4:5], v[6:7] op_sel:[0,0,1] op_sel_hi:[1,1,0] neg_lo:[0,0,1] neg_hi:[0,0,1]
	ds_read2_b64 v[4:7], v204 offset0:114 offset1:177
	v_accvgpr_read_b32 v9, a105
	v_accvgpr_read_b32 v10, a116
	v_accvgpr_read_b32 v11, a117
	v_mov_b32_e32 v25, v27
	s_waitcnt lgkmcnt(0)
	v_pk_mul_f32 v[8:9], v[8:9], v[6:7]
	v_mov_b32_e32 v197, v23
	v_pk_fma_f32 v[30:31], v[10:11], v[6:7], v[8:9] op_sel:[0,0,1] op_sel_hi:[1,1,0]
	v_pk_fma_f32 v[164:165], v[10:11], v[6:7], v[8:9] op_sel:[0,0,1] op_sel_hi:[1,1,0] neg_lo:[0,0,1] neg_hi:[0,0,1]
	v_accvgpr_read_b32 v8, a92
	v_accvgpr_read_b32 v9, a93
	v_pk_mul_f32 v[6:7], v[8:9], v[4:5]
	v_accvgpr_read_b32 v8, a110
	v_accvgpr_read_b32 v9, a111
	v_pk_fma_f32 v[202:203], v[8:9], v[4:5], v[6:7] op_sel:[0,0,1] op_sel_hi:[1,1,0]
	v_pk_fma_f32 v[206:207], v[8:9], v[4:5], v[6:7] op_sel:[0,0,1] op_sel_hi:[1,1,0] neg_lo:[0,0,1] neg_hi:[0,0,1]
	ds_read2_b64 v[4:7], v201 offset0:106 offset1:169
	v_accvgpr_read_b32 v8, a108
	v_accvgpr_read_b32 v9, a109
	v_accvgpr_read_b32 v10, a94
	v_accvgpr_read_b32 v11, a95
	s_waitcnt lgkmcnt(0)
	v_pk_mul_f32 v[8:9], v[8:9], v[6:7]
	v_mov_b32_e32 v203, v207
	v_pk_fma_f32 v[208:209], v[10:11], v[6:7], v[8:9] op_sel:[0,0,1] op_sel_hi:[1,1,0]
	v_pk_fma_f32 v[216:217], v[10:11], v[6:7], v[8:9] op_sel:[0,0,1] op_sel_hi:[1,1,0] neg_lo:[0,0,1] neg_hi:[0,0,1]
	v_accvgpr_read_b32 v6, a102
	v_accvgpr_read_b32 v7, a103
	v_accvgpr_read_b32 v8, a84
	v_pk_mul_f32 v[6:7], v[6:7], v[4:5]
	v_accvgpr_read_b32 v10, a86
	v_accvgpr_read_b32 v11, a87
	v_pk_fma_f32 v[218:219], v[10:11], v[4:5], v[6:7] op_sel:[0,0,1] op_sel_hi:[1,1,0]
	v_pk_fma_f32 v[220:221], v[10:11], v[4:5], v[6:7] op_sel:[0,0,1] op_sel_hi:[1,1,0] neg_lo:[0,0,1] neg_hi:[0,0,1]
	ds_read2_b64 v[4:7], v229 offset0:116 offset1:179
	v_accvgpr_read_b32 v9, a85
	v_accvgpr_read_b32 v10, a100
	v_accvgpr_read_b32 v11, a101
	v_mov_b32_e32 v219, v221
	s_waitcnt lgkmcnt(0)
	v_pk_mul_f32 v[8:9], v[8:9], v[6:7]
	v_mov_b32_e32 v209, v217
	;; [unrolled: 35-line block ×3, first 2 shown]
	v_pk_fma_f32 v[240:241], v[10:11], v[6:7], v[8:9] op_sel:[0,0,1] op_sel_hi:[1,1,0]
	v_pk_fma_f32 v[242:243], v[10:11], v[6:7], v[8:9] op_sel:[0,0,1] op_sel_hi:[1,1,0] neg_lo:[0,0,1] neg_hi:[0,0,1]
	v_accvgpr_read_b32 v8, a60
	v_accvgpr_read_b32 v9, a61
	v_pk_mul_f32 v[6:7], v[8:9], v[4:5]
	v_accvgpr_read_b32 v8, a82
	v_accvgpr_read_b32 v9, a83
	v_pk_fma_f32 v[244:245], v[8:9], v[4:5], v[6:7] op_sel:[0,0,1] op_sel_hi:[1,1,0]
	v_pk_fma_f32 v[246:247], v[8:9], v[4:5], v[6:7] op_sel:[0,0,1] op_sel_hi:[1,1,0] neg_lo:[0,0,1] neg_hi:[0,0,1]
	ds_read2_b64 v[4:7], v212 offset0:110 offset1:173
	v_accvgpr_read_b32 v10, a62
	v_accvgpr_read_b32 v11, a63
	v_mov_b32_e32 v245, v247
	v_mov_b32_e32 v241, v243
	s_waitcnt lgkmcnt(0)
	v_pk_mul_f32 v[8:9], v[254:255], v[6:7]
	v_mov_b32_e32 v223, v225
	v_pk_fma_f32 v[248:249], v[10:11], v[6:7], v[8:9] op_sel:[0,0,1] op_sel_hi:[1,1,0]
	v_pk_fma_f32 v[166:167], v[10:11], v[6:7], v[8:9] op_sel:[0,0,1] op_sel_hi:[1,1,0] neg_lo:[0,0,1] neg_hi:[0,0,1]
	v_pk_mul_f32 v[6:7], v[250:251], v[4:5]
	v_mov_b32_e32 v249, v167
	v_pk_fma_f32 v[10:11], v[14:15], v[4:5], v[6:7] op_sel:[0,0,1] op_sel_hi:[1,1,0]
	v_pk_fma_f32 v[8:9], v[14:15], v[4:5], v[6:7] op_sel:[0,0,1] op_sel_hi:[1,1,0] neg_lo:[0,0,1] neg_hi:[0,0,1]
	ds_read2_b64 v[4:7], v205 offset0:120 offset1:183
	v_mov_b32_e32 v11, v9
	v_pk_add_f32 v[166:167], v[244:245], v[248:249] neg_lo:[0,1] neg_hi:[0,1]
	v_mov_b32_e32 v31, v165
	v_pk_mul_f32 v[166:167], v[166:167], s[2:3] op_sel_hi:[1,0]
	s_waitcnt lgkmcnt(0)
	v_pk_mul_f32 v[12:13], v[12:13], v[6:7]
	v_mov_b32_e32 v3, v33
	v_pk_fma_f32 v[14:15], v[16:17], v[6:7], v[12:13] op_sel:[0,0,1] op_sel_hi:[1,1,0]
	v_pk_fma_f32 v[6:7], v[16:17], v[6:7], v[12:13] op_sel:[0,0,1] op_sel_hi:[1,1,0] neg_lo:[0,0,1] neg_hi:[0,0,1]
	v_accvgpr_read_b32 v26, a160
	v_mov_b32_e32 v15, v7
	ds_read2_b64 v[6:9], v228 offset1:63
	v_accvgpr_read_b32 v27, a161
	s_waitcnt lgkmcnt(0)
	v_pk_add_f32 v[12:13], v[6:7], v[14:15]
	s_nop 0
	v_pk_add_f32 v[254:255], v[12:13], v[10:11]
	v_pk_add_f32 v[12:13], v[14:15], v[10:11]
	v_pk_add_f32 v[10:11], v[14:15], v[10:11] neg_lo:[0,1] neg_hi:[0,1]
	v_pk_fma_f32 v[6:7], v[12:13], 0.5, v[6:7] op_sel_hi:[1,0,1] neg_lo:[1,0,0] neg_hi:[1,0,0]
	v_pk_mul_f32 v[10:11], v[10:11], s[2:3] op_sel_hi:[1,0]
	s_nop 0
	v_pk_add_f32 v[214:215], v[6:7], v[10:11] op_sel:[0,1] op_sel_hi:[1,0] neg_lo:[0,1] neg_hi:[0,1]
	v_pk_add_f32 v[6:7], v[6:7], v[10:11] op_sel:[0,1] op_sel_hi:[1,0]
	ds_read2_b64 v[10:13], v192 offset0:122 offset1:185
	ds_read2_b64 v[14:17], v253 offset0:124 offset1:187
	;; [unrolled: 1-line block ×3, first 2 shown]
	s_waitcnt lgkmcnt(0)
	; wave barrier
	s_waitcnt lgkmcnt(0)
	scratch_load_dword v1, off, off offset:36 ; 4-byte Folded Reload
	v_mov_b32_e32 v250, v214
	v_mov_b32_e32 v251, v7
	;; [unrolled: 1-line block ×3, first 2 shown]
	s_waitcnt vmcnt(0)
	ds_write2_b64 v1, v[254:255], v[250:251] offset1:3
	ds_write_b64 v1, v[6:7] offset:48
	scratch_load_dword v1, off, off offset:56 ; 4-byte Folded Reload
	v_pk_add_f32 v[6:7], v[244:245], v[248:249]
	s_nop 0
	v_pk_fma_f32 v[6:7], v[6:7], 0.5, v[8:9] op_sel_hi:[1,0,1] neg_lo:[1,0,0] neg_hi:[1,0,0]
	v_pk_add_f32 v[8:9], v[8:9], v[244:245]
	v_pk_add_f32 v[214:215], v[6:7], v[166:167] op_sel:[0,1] op_sel_hi:[1,0] neg_lo:[0,1] neg_hi:[0,1]
	v_pk_add_f32 v[6:7], v[6:7], v[166:167] op_sel:[0,1] op_sel_hi:[1,0]
	v_pk_add_f32 v[8:9], v[8:9], v[248:249]
	v_mov_b32_e32 v166, v214
	v_mov_b32_e32 v167, v7
	;; [unrolled: 1-line block ×3, first 2 shown]
	s_waitcnt vmcnt(0)
	ds_write2_b64 v1, v[8:9], v[166:167] offset1:3
	ds_write_b64 v1, v[6:7] offset:48
	scratch_load_dword v1, off, off offset:68 ; 4-byte Folded Reload
	v_pk_add_f32 v[8:9], v[240:241], v[236:237]
	v_pk_add_f32 v[166:167], v[240:241], v[236:237] neg_lo:[0,1] neg_hi:[0,1]
	v_pk_add_f32 v[6:7], v[18:19], v[240:241]
	v_pk_fma_f32 v[8:9], v[8:9], 0.5, v[18:19] op_sel_hi:[1,0,1] neg_lo:[1,0,0] neg_hi:[1,0,0]
	v_pk_mul_f32 v[18:19], v[166:167], s[2:3] op_sel_hi:[1,0]
	v_pk_add_f32 v[6:7], v[6:7], v[236:237]
	v_pk_add_f32 v[166:167], v[8:9], v[18:19] op_sel:[0,1] op_sel_hi:[1,0] neg_lo:[0,1] neg_hi:[0,1]
	v_pk_add_f32 v[8:9], v[8:9], v[18:19] op_sel:[0,1] op_sel_hi:[1,0]
	v_mov_b32_e32 v18, v166
	v_mov_b32_e32 v19, v9
	;; [unrolled: 1-line block ×3, first 2 shown]
	s_waitcnt vmcnt(0)
	ds_write2_b64 v1, v[6:7], v[18:19] offset1:3
	ds_write_b64 v1, v[8:9] offset:48
	scratch_load_dword v1, off, off offset:64 ; 4-byte Folded Reload
	v_pk_add_f32 v[6:7], v[226:227], v[232:233]
	v_pk_add_f32 v[18:19], v[226:227], v[232:233] neg_lo:[0,1] neg_hi:[0,1]
	v_pk_fma_f32 v[6:7], v[6:7], 0.5, v[20:21] op_sel_hi:[1,0,1] neg_lo:[1,0,0] neg_hi:[1,0,0]
	v_pk_mul_f32 v[18:19], v[18:19], s[2:3] op_sel_hi:[1,0]
	v_pk_add_f32 v[8:9], v[20:21], v[226:227]
	v_pk_add_f32 v[20:21], v[6:7], v[18:19] op_sel:[0,1] op_sel_hi:[1,0] neg_lo:[0,1] neg_hi:[0,1]
	v_pk_add_f32 v[6:7], v[6:7], v[18:19] op_sel:[0,1] op_sel_hi:[1,0]
	v_pk_add_f32 v[8:9], v[8:9], v[232:233]
	v_mov_b32_e32 v18, v20
	v_mov_b32_e32 v19, v7
	;; [unrolled: 1-line block ×3, first 2 shown]
	s_waitcnt vmcnt(0)
	ds_write2_b64 v1, v[8:9], v[18:19] offset1:3
	ds_write_b64 v1, v[6:7] offset:48
	scratch_load_dword v1, off, off offset:60 ; 4-byte Folded Reload
	v_pk_add_f32 v[6:7], v[222:223], v[218:219]
	v_pk_add_f32 v[8:9], v[222:223], v[218:219] neg_lo:[0,1] neg_hi:[0,1]
	v_pk_fma_f32 v[6:7], v[6:7], 0.5, v[14:15] op_sel_hi:[1,0,1] neg_lo:[1,0,0] neg_hi:[1,0,0]
	v_pk_mul_f32 v[8:9], v[8:9], s[2:3] op_sel_hi:[1,0]
	s_nop 0
	v_pk_add_f32 v[18:19], v[6:7], v[8:9] op_sel:[0,1] op_sel_hi:[1,0]
	v_pk_add_f32 v[6:7], v[6:7], v[8:9] op_sel:[0,1] op_sel_hi:[1,0] neg_lo:[0,1] neg_hi:[0,1]
	v_pk_add_f32 v[8:9], v[14:15], v[222:223]
	v_mov_b32_e32 v14, v6
	v_pk_add_f32 v[8:9], v[8:9], v[218:219]
	v_mov_b32_e32 v15, v19
	v_mov_b32_e32 v19, v7
	v_pk_add_f32 v[6:7], v[202:203], v[208:209]
	s_waitcnt vmcnt(0)
	ds_write2_b64 v1, v[8:9], v[14:15] offset1:3
	ds_write_b64 v1, v[18:19] offset:48
	scratch_load_dword v1, off, off offset:48 ; 4-byte Folded Reload
	v_pk_add_f32 v[14:15], v[202:203], v[208:209] neg_lo:[0,1] neg_hi:[0,1]
	v_pk_fma_f32 v[6:7], v[6:7], 0.5, v[16:17] op_sel_hi:[1,0,1] neg_lo:[1,0,0] neg_hi:[1,0,0]
	v_pk_mul_f32 v[14:15], v[14:15], s[2:3] op_sel_hi:[1,0]
	v_pk_add_f32 v[8:9], v[16:17], v[202:203]
	v_pk_add_f32 v[16:17], v[6:7], v[14:15] op_sel:[0,1] op_sel_hi:[1,0]
	v_pk_add_f32 v[6:7], v[6:7], v[14:15] op_sel:[0,1] op_sel_hi:[1,0] neg_lo:[0,1] neg_hi:[0,1]
	v_pk_add_f32 v[8:9], v[8:9], v[208:209]
	v_mov_b32_e32 v14, v6
	v_mov_b32_e32 v15, v17
	;; [unrolled: 1-line block ×3, first 2 shown]
	v_pk_add_f32 v[6:7], v[30:31], v[24:25]
	v_accvgpr_read_b32 v18, a152
	v_pk_fma_f32 v[6:7], v[6:7], 0.5, v[10:11] op_sel_hi:[1,0,1] neg_lo:[1,0,0] neg_hi:[1,0,0]
	v_accvgpr_read_b32 v19, a153
	s_waitcnt vmcnt(0)
	ds_write2_b64 v1, v[8:9], v[14:15] offset1:3
	ds_write_b64 v1, v[16:17] offset:48
	scratch_load_dword v1, off, off offset:52 ; 4-byte Folded Reload
	v_pk_add_f32 v[8:9], v[30:31], v[24:25] neg_lo:[0,1] neg_hi:[0,1]
	s_nop 0
	v_pk_mul_f32 v[8:9], v[8:9], s[2:3] op_sel_hi:[1,0]
	s_nop 0
	v_pk_add_f32 v[14:15], v[6:7], v[8:9] op_sel:[0,1] op_sel_hi:[1,0]
	v_pk_add_f32 v[6:7], v[6:7], v[8:9] op_sel:[0,1] op_sel_hi:[1,0] neg_lo:[0,1] neg_hi:[0,1]
	v_pk_add_f32 v[8:9], v[10:11], v[30:31]
	v_mov_b32_e32 v10, v6
	v_pk_add_f32 v[8:9], v[8:9], v[24:25]
	v_mov_b32_e32 v11, v15
	v_mov_b32_e32 v15, v7
	v_pk_add_f32 v[6:7], v[28:29], v[196:197]
	s_waitcnt vmcnt(0)
	ds_write2_b64 v1, v[8:9], v[10:11] offset1:3
	ds_write_b64 v1, v[14:15] offset:48
	scratch_load_dword v1, off, off offset:40 ; 4-byte Folded Reload
	v_pk_add_f32 v[10:11], v[28:29], v[196:197] neg_lo:[0,1] neg_hi:[0,1]
	v_pk_fma_f32 v[6:7], v[6:7], 0.5, v[12:13] op_sel_hi:[1,0,1] neg_lo:[1,0,0] neg_hi:[1,0,0]
	v_pk_mul_f32 v[10:11], v[10:11], s[2:3] op_sel_hi:[1,0]
	v_pk_add_f32 v[8:9], v[12:13], v[28:29]
	v_pk_add_f32 v[12:13], v[6:7], v[10:11] op_sel:[0,1] op_sel_hi:[1,0]
	v_pk_add_f32 v[6:7], v[6:7], v[10:11] op_sel:[0,1] op_sel_hi:[1,0] neg_lo:[0,1] neg_hi:[0,1]
	v_pk_add_f32 v[8:9], v[8:9], v[196:197]
	v_mov_b32_e32 v10, v6
	v_mov_b32_e32 v11, v13
	v_mov_b32_e32 v13, v7
	v_accvgpr_read_b32 v28, a174
	v_accvgpr_read_b32 v29, a175
	s_waitcnt vmcnt(0)
	ds_write2_b64 v1, v[8:9], v[10:11] offset1:3
	ds_write_b64 v1, v[12:13] offset:48
	v_mov_b32_e32 v1, v35
	v_pk_add_f32 v[6:7], v[2:3], v[0:1]
	v_accvgpr_read_b32 v10, a168
	v_pk_fma_f32 v[6:7], v[6:7], 0.5, v[4:5] op_sel_hi:[1,0,1] neg_lo:[1,0,0] neg_hi:[1,0,0]
	v_pk_add_f32 v[4:5], v[4:5], v[2:3]
	v_pk_add_f32 v[2:3], v[2:3], v[0:1] neg_lo:[0,1] neg_hi:[0,1]
	v_pk_add_f32 v[0:1], v[4:5], v[0:1]
	v_pk_mul_f32 v[2:3], v[2:3], s[2:3] op_sel_hi:[1,0]
	v_accvgpr_read_b32 v11, a169
	v_pk_add_f32 v[8:9], v[6:7], v[2:3] op_sel:[0,1] op_sel_hi:[1,0]
	v_pk_add_f32 v[2:3], v[6:7], v[2:3] op_sel:[0,1] op_sel_hi:[1,0] neg_lo:[0,1] neg_hi:[0,1]
	v_mov_b32_e32 v5, v9
	v_mov_b32_e32 v4, v2
	scratch_load_dword v2, off, off offset:44 ; 4-byte Folded Reload
	v_mov_b32_e32 v9, v3
	v_accvgpr_read_b32 v34, a184
	v_accvgpr_read_b32 v35, a185
	s_waitcnt vmcnt(0)
	ds_write2_b64 v2, v[0:1], v[4:5] offset1:3
	ds_write_b64 v2, v[8:9] offset:48
	s_waitcnt lgkmcnt(0)
	; wave barrier
	s_waitcnt lgkmcnt(0)
	ds_read_b64 v[2:3], v228 offset:13104
	ds_read2_b64 v[6:9], v210 offset0:112 offset1:175
	v_accvgpr_read_b32 v0, a224
	v_accvgpr_read_b32 v1, a225
	ds_read2_b64 v[14:17], v204 offset0:114 offset1:177
	s_waitcnt lgkmcnt(2)
	v_pk_mul_f32 v[4:5], v[0:1], v[2:3]
	ds_read2_b64 v[22:25], v229 offset0:116 offset1:179
	v_pk_fma_f32 v[0:1], v[50:51], v[2:3], v[4:5] op_sel:[0,0,1] op_sel_hi:[1,1,0]
	v_pk_fma_f32 v[50:51], v[50:51], v[2:3], v[4:5] op_sel:[0,0,1] op_sel_hi:[1,1,0] neg_lo:[0,0,1] neg_hi:[0,0,1]
	s_waitcnt lgkmcnt(2)
	v_pk_mul_f32 v[4:5], v[48:49], v[8:9]
	v_accvgpr_read_b32 v1, a178
	v_pk_fma_f32 v[2:3], v[10:11], v[8:9], v[4:5] op_sel:[0,0,1] op_sel_hi:[1,1,0]
	v_pk_fma_f32 v[48:49], v[10:11], v[8:9], v[4:5] op_sel:[0,0,1] op_sel_hi:[1,1,0] neg_lo:[0,0,1] neg_hi:[0,0,1]
	v_accvgpr_read_b32 v10, a164
	v_pk_mul_f32 v[8:9], v[44:45], v[6:7]
	v_accvgpr_read_b32 v11, a165
	v_pk_fma_f32 v[4:5], v[10:11], v[6:7], v[8:9] op_sel:[0,0,1] op_sel_hi:[1,1,0]
	v_pk_fma_f32 v[44:45], v[10:11], v[6:7], v[8:9] op_sel:[0,0,1] op_sel_hi:[1,1,0] neg_lo:[0,0,1] neg_hi:[0,0,1]
	ds_read2_b64 v[10:13], v211 offset0:104 offset1:167
	v_accvgpr_read_b32 v6, a162
	v_accvgpr_read_b32 v7, a163
	v_mov_b32_e32 v3, v49
	v_mov_b32_e32 v5, v45
	s_waitcnt lgkmcnt(0)
	v_pk_mul_f32 v[8:9], v[6:7], v[12:13]
	s_nop 0
	v_pk_fma_f32 v[6:7], v[46:47], v[12:13], v[8:9] op_sel:[0,0,1] op_sel_hi:[1,1,0]
	v_pk_fma_f32 v[46:47], v[46:47], v[12:13], v[8:9] op_sel:[0,0,1] op_sel_hi:[1,1,0] neg_lo:[0,0,1] neg_hi:[0,0,1]
	v_accvgpr_read_b32 v8, a156
	v_accvgpr_read_b32 v9, a157
	v_pk_mul_f32 v[12:13], v[8:9], v[10:11]
	v_mov_b32_e32 v7, v47
	v_pk_fma_f32 v[8:9], v[42:43], v[10:11], v[12:13] op_sel:[0,0,1] op_sel_hi:[1,1,0]
	v_pk_fma_f32 v[42:43], v[42:43], v[10:11], v[12:13] op_sel:[0,0,1] op_sel_hi:[1,1,0] neg_lo:[0,0,1] neg_hi:[0,0,1]
	v_pk_mul_f32 v[12:13], v[40:41], v[16:17]
	v_mov_b32_e32 v9, v43
	v_pk_fma_f32 v[10:11], v[18:19], v[16:17], v[12:13] op_sel:[0,0,1] op_sel_hi:[1,1,0]
	v_pk_fma_f32 v[40:41], v[18:19], v[16:17], v[12:13] op_sel:[0,0,1] op_sel_hi:[1,1,0] neg_lo:[0,0,1] neg_hi:[0,0,1]
	v_accvgpr_read_b32 v18, a146
	v_pk_mul_f32 v[16:17], v[36:37], v[14:15]
	v_accvgpr_read_b32 v19, a147
	v_pk_fma_f32 v[12:13], v[18:19], v[14:15], v[16:17] op_sel:[0,0,1] op_sel_hi:[1,1,0]
	v_pk_fma_f32 v[164:165], v[18:19], v[14:15], v[16:17] op_sel:[0,0,1] op_sel_hi:[1,1,0] neg_lo:[0,0,1] neg_hi:[0,0,1]
	ds_read2_b64 v[18:21], v201 offset0:106 offset1:169
	v_accvgpr_read_b32 v14, a158
	v_accvgpr_read_b32 v15, a159
	v_mov_b32_e32 v11, v41
	v_pk_add_f32 v[44:45], v[4:5], v[6:7]
	s_waitcnt lgkmcnt(0)
	v_pk_mul_f32 v[16:17], v[14:15], v[20:21]
	v_pk_add_f32 v[46:47], v[4:5], v[6:7] neg_lo:[0,1] neg_hi:[0,1]
	v_pk_fma_f32 v[14:15], v[38:39], v[20:21], v[16:17] op_sel:[0,0,1] op_sel_hi:[1,1,0]
	v_pk_fma_f32 v[166:167], v[38:39], v[20:21], v[16:17] op_sel:[0,0,1] op_sel_hi:[1,1,0] neg_lo:[0,0,1] neg_hi:[0,0,1]
	v_accvgpr_read_b32 v16, a150
	v_accvgpr_read_b32 v17, a151
	v_pk_mul_f32 v[20:21], v[16:17], v[18:19]
	v_pk_add_f32 v[40:41], v[10:11], v[8:9]
	v_pk_fma_f32 v[16:17], v[54:55], v[18:19], v[20:21] op_sel:[0,0,1] op_sel_hi:[1,1,0]
	v_pk_fma_f32 v[54:55], v[54:55], v[18:19], v[20:21] op_sel:[0,0,1] op_sel_hi:[1,1,0] neg_lo:[0,0,1] neg_hi:[0,0,1]
	v_pk_mul_f32 v[20:21], v[52:53], v[24:25]
	v_pk_add_f32 v[42:43], v[10:11], v[8:9] neg_lo:[0,1] neg_hi:[0,1]
	v_pk_fma_f32 v[18:19], v[26:27], v[24:25], v[20:21] op_sel:[0,0,1] op_sel_hi:[1,1,0]
	v_pk_fma_f32 v[52:53], v[26:27], v[24:25], v[20:21] op_sel:[0,0,1] op_sel_hi:[1,1,0] neg_lo:[0,0,1] neg_hi:[0,0,1]
	v_accvgpr_read_b32 v26, a172
	v_pk_mul_f32 v[24:25], v[60:61], v[22:23]
	v_accvgpr_read_b32 v27, a173
	v_pk_fma_f32 v[20:21], v[26:27], v[22:23], v[24:25] op_sel:[0,0,1] op_sel_hi:[1,1,0]
	v_pk_fma_f32 v[60:61], v[26:27], v[22:23], v[24:25] op_sel:[0,0,1] op_sel_hi:[1,1,0] neg_lo:[0,0,1] neg_hi:[0,0,1]
	ds_read2_b64 v[22:25], v200 offset0:108 offset1:171
	v_accvgpr_read_b32 v26, a170
	v_accvgpr_read_b32 v27, a171
	;; [unrolled: 1-line block ×3, first 2 shown]
	v_pk_mul_f32 v[46:47], v[46:47], s[2:3] op_sel_hi:[1,0]
	s_waitcnt lgkmcnt(0)
	v_pk_mul_f32 v[26:27], v[26:27], v[24:25]
	v_pk_mul_f32 v[42:43], v[42:43], s[2:3] op_sel_hi:[1,0]
	v_pk_fma_f32 v[196:197], v[62:63], v[24:25], v[26:27] op_sel:[0,0,1] op_sel_hi:[1,1,0]
	v_pk_fma_f32 v[62:63], v[62:63], v[24:25], v[26:27] op_sel:[0,0,1] op_sel_hi:[1,1,0] neg_lo:[0,0,1] neg_hi:[0,0,1]
	v_accvgpr_read_b32 v24, a166
	v_accvgpr_read_b32 v25, a167
	v_pk_mul_f32 v[24:25], v[24:25], v[22:23]
	v_mov_b32_e32 v13, v165
	v_pk_fma_f32 v[198:199], v[58:59], v[22:23], v[24:25] op_sel:[0,0,1] op_sel_hi:[1,1,0]
	v_pk_fma_f32 v[58:59], v[58:59], v[22:23], v[24:25] op_sel:[0,0,1] op_sel_hi:[1,1,0] neg_lo:[0,0,1] neg_hi:[0,0,1]
	ds_read2_b64 v[22:25], v213 offset0:118 offset1:181
	v_mov_b32_e32 v199, v59
	v_mov_b32_e32 v15, v167
	;; [unrolled: 1-line block ×4, first 2 shown]
	s_waitcnt lgkmcnt(0)
	v_pk_mul_f32 v[26:27], v[56:57], v[24:25]
	v_pk_add_f32 v[52:53], v[18:19], v[16:17]
	v_pk_fma_f32 v[56:57], v[28:29], v[24:25], v[26:27] op_sel:[0,0,1] op_sel_hi:[1,1,0]
	v_pk_fma_f32 v[202:203], v[28:29], v[24:25], v[26:27] op_sel:[0,0,1] op_sel_hi:[1,1,0] neg_lo:[0,0,1] neg_hi:[0,0,1]
	v_accvgpr_read_b32 v26, a182
	v_pk_mul_f32 v[24:25], v[68:69], v[22:23]
	v_accvgpr_read_b32 v27, a183
	v_pk_fma_f32 v[68:69], v[26:27], v[22:23], v[24:25] op_sel:[0,0,1] op_sel_hi:[1,1,0]
	v_pk_fma_f32 v[206:207], v[26:27], v[22:23], v[24:25] op_sel:[0,0,1] op_sel_hi:[1,1,0] neg_lo:[0,0,1] neg_hi:[0,0,1]
	ds_read2_b64 v[22:25], v212 offset0:110 offset1:173
	v_accvgpr_read_b32 v26, a180
	v_accvgpr_read_b32 v27, a181
	v_mov_b32_e32 v69, v207
	v_mov_b32_e32 v57, v203
	s_waitcnt lgkmcnt(0)
	v_pk_mul_f32 v[26:27], v[26:27], v[24:25]
	v_pk_add_f32 v[54:55], v[18:19], v[16:17] neg_lo:[0,1] neg_hi:[0,1]
	v_pk_fma_f32 v[208:209], v[70:71], v[24:25], v[26:27] op_sel:[0,0,1] op_sel_hi:[1,1,0]
	v_pk_fma_f32 v[70:71], v[70:71], v[24:25], v[26:27] op_sel:[0,0,1] op_sel_hi:[1,1,0] neg_lo:[0,0,1] neg_hi:[0,0,1]
	v_accvgpr_read_b32 v24, a176
	v_accvgpr_read_b32 v25, a177
	v_pk_mul_f32 v[24:25], v[24:25], v[22:23]
	v_mov_b32_e32 v209, v71
	v_pk_fma_f32 v[28:29], v[66:67], v[22:23], v[24:25] op_sel:[0,0,1] op_sel_hi:[1,1,0]
	v_pk_fma_f32 v[26:27], v[66:67], v[22:23], v[24:25] op_sel:[0,0,1] op_sel_hi:[1,1,0] neg_lo:[0,0,1] neg_hi:[0,0,1]
	ds_read2_b64 v[22:25], v205 offset0:120 offset1:183
	v_mov_b32_e32 v29, v27
	v_pk_mul_f32 v[54:55], v[54:55], s[2:3] op_sel_hi:[1,0]
	v_mov_b32_e32 v21, v61
	v_mov_b32_e32 v197, v63
	s_waitcnt lgkmcnt(0)
	v_pk_mul_f32 v[30:31], v[64:65], v[24:25]
	s_nop 0
	v_pk_fma_f32 v[32:33], v[34:35], v[24:25], v[30:31] op_sel:[0,0,1] op_sel_hi:[1,1,0]
	v_pk_fma_f32 v[24:25], v[34:35], v[24:25], v[30:31] op_sel:[0,0,1] op_sel_hi:[1,1,0] neg_lo:[0,0,1] neg_hi:[0,0,1]
	s_nop 0
	v_mov_b32_e32 v33, v25
	ds_read2_b64 v[24:27], v228 offset1:63
	s_waitcnt lgkmcnt(0)
	v_pk_add_f32 v[30:31], v[24:25], v[32:33]
	s_nop 0
	v_pk_add_f32 v[64:65], v[30:31], v[28:29]
	v_pk_add_f32 v[30:31], v[32:33], v[28:29]
	v_pk_add_f32 v[28:29], v[32:33], v[28:29] neg_lo:[0,1] neg_hi:[0,1]
	v_pk_fma_f32 v[24:25], v[30:31], 0.5, v[24:25] op_sel_hi:[1,0,1] neg_lo:[1,0,0] neg_hi:[1,0,0]
	v_pk_mul_f32 v[28:29], v[28:29], s[2:3] op_sel_hi:[1,0]
	s_nop 0
	v_pk_add_f32 v[66:67], v[24:25], v[28:29] op_sel:[0,1] op_sel_hi:[1,0] neg_lo:[0,1] neg_hi:[0,1]
	v_pk_add_f32 v[24:25], v[24:25], v[28:29] op_sel:[0,1] op_sel_hi:[1,0]
	v_mov_b32_e32 v214, v66
	v_mov_b32_e32 v215, v25
	;; [unrolled: 1-line block ×3, first 2 shown]
	ds_read2_b64 v[28:31], v192 offset0:122 offset1:185
	ds_read2_b64 v[32:35], v253 offset0:124 offset1:187
	;; [unrolled: 1-line block ×3, first 2 shown]
	s_waitcnt lgkmcnt(0)
	; wave barrier
	s_waitcnt lgkmcnt(0)
	ds_write2_b64 v1, v[64:65], v[214:215] offset1:9
	ds_write_b64 v1, v[24:25] offset:144
	v_pk_add_f32 v[24:25], v[68:69], v[208:209]
	v_pk_add_f32 v[64:65], v[68:69], v[208:209] neg_lo:[0,1] neg_hi:[0,1]
	v_pk_fma_f32 v[24:25], v[24:25], 0.5, v[26:27] op_sel_hi:[1,0,1] neg_lo:[1,0,0] neg_hi:[1,0,0]
	v_pk_mul_f32 v[64:65], v[64:65], s[2:3] op_sel_hi:[1,0]
	v_pk_add_f32 v[26:27], v[26:27], v[68:69]
	v_pk_add_f32 v[66:67], v[24:25], v[64:65] op_sel:[0,1] op_sel_hi:[1,0] neg_lo:[0,1] neg_hi:[0,1]
	v_pk_add_f32 v[24:25], v[24:25], v[64:65] op_sel:[0,1] op_sel_hi:[1,0]
	v_pk_add_f32 v[26:27], v[26:27], v[208:209]
	v_mov_b32_e32 v65, v25
	v_mov_b32_e32 v25, v67
	;; [unrolled: 1-line block ×4, first 2 shown]
	ds_write_b64 v60, v[24:25] offset:144
	v_pk_add_f32 v[24:25], v[56:57], v[198:199]
	ds_write2_b64 v60, v[26:27], v[64:65] offset1:9
	v_pk_add_f32 v[26:27], v[2:3], v[0:1]
	v_pk_add_f32 v[48:49], v[2:3], v[0:1] neg_lo:[0,1] neg_hi:[0,1]
	v_pk_add_f32 v[58:59], v[36:37], v[56:57]
	v_pk_fma_f32 v[24:25], v[24:25], 0.5, v[36:37] op_sel_hi:[1,0,1] neg_lo:[1,0,0] neg_hi:[1,0,0]
	v_pk_add_f32 v[36:37], v[56:57], v[198:199] neg_lo:[0,1] neg_hi:[0,1]
	v_pk_fma_f32 v[26:27], v[26:27], 0.5, v[22:23] op_sel_hi:[1,0,1] neg_lo:[1,0,0] neg_hi:[1,0,0]
	v_pk_mul_f32 v[48:49], v[48:49], s[2:3] op_sel_hi:[1,0]
	v_pk_fma_f32 v[44:45], v[44:45], 0.5, v[30:31] op_sel_hi:[1,0,1] neg_lo:[1,0,0] neg_hi:[1,0,0]
	v_pk_fma_f32 v[40:41], v[40:41], 0.5, v[28:29] op_sel_hi:[1,0,1] neg_lo:[1,0,0] neg_hi:[1,0,0]
	v_pk_mul_f32 v[36:37], v[36:37], s[2:3] op_sel_hi:[1,0]
	v_pk_add_f32 v[50:51], v[26:27], v[48:49] op_sel:[0,1] op_sel_hi:[1,0]
	v_pk_add_f32 v[26:27], v[26:27], v[48:49] op_sel:[0,1] op_sel_hi:[1,0] neg_lo:[0,1] neg_hi:[0,1]
	v_pk_add_f32 v[48:49], v[44:45], v[46:47] op_sel:[0,1] op_sel_hi:[1,0]
	v_pk_add_f32 v[44:45], v[44:45], v[46:47] op_sel:[0,1] op_sel_hi:[1,0] neg_lo:[0,1] neg_hi:[0,1]
	;; [unrolled: 2-line block ×3, first 2 shown]
	v_pk_add_f32 v[42:43], v[12:13], v[14:15]
	v_pk_add_f32 v[64:65], v[12:13], v[14:15] neg_lo:[0,1] neg_hi:[0,1]
	v_pk_add_f32 v[56:57], v[24:25], v[36:37] op_sel:[0,1] op_sel_hi:[1,0] neg_lo:[0,1] neg_hi:[0,1]
	v_pk_add_f32 v[24:25], v[24:25], v[36:37] op_sel:[0,1] op_sel_hi:[1,0]
	v_pk_fma_f32 v[42:43], v[42:43], 0.5, v[34:35] op_sel_hi:[1,0,1] neg_lo:[1,0,0] neg_hi:[1,0,0]
	v_pk_mul_f32 v[64:65], v[64:65], s[2:3] op_sel_hi:[1,0]
	v_pk_fma_f32 v[52:53], v[52:53], 0.5, v[32:33] op_sel_hi:[1,0,1] neg_lo:[1,0,0] neg_hi:[1,0,0]
	v_mov_b32_e32 v36, v56
	v_mov_b32_e32 v37, v25
	v_accvgpr_read_b32 v56, a142
	v_mov_b32_e32 v25, v57
	v_pk_add_f32 v[68:69], v[42:43], v[64:65] op_sel:[0,1] op_sel_hi:[1,0]
	v_pk_add_f32 v[42:43], v[42:43], v[64:65] op_sel:[0,1] op_sel_hi:[1,0] neg_lo:[0,1] neg_hi:[0,1]
	v_pk_add_f32 v[64:65], v[52:53], v[54:55] op_sel:[0,1] op_sel_hi:[1,0]
	v_pk_add_f32 v[52:53], v[52:53], v[54:55] op_sel:[0,1] op_sel_hi:[1,0] neg_lo:[0,1] neg_hi:[0,1]
	v_pk_add_f32 v[54:55], v[38:39], v[20:21]
	ds_write_b64 v56, v[24:25] offset:144
	v_pk_add_f32 v[24:25], v[20:21], v[196:197]
	v_pk_add_f32 v[20:21], v[20:21], v[196:197] neg_lo:[0,1] neg_hi:[0,1]
	v_pk_add_f32 v[58:59], v[58:59], v[198:199]
	v_pk_fma_f32 v[24:25], v[24:25], 0.5, v[38:39] op_sel_hi:[1,0,1] neg_lo:[1,0,0] neg_hi:[1,0,0]
	v_pk_mul_f32 v[20:21], v[20:21], s[2:3] op_sel_hi:[1,0]
	ds_write2_b64 v56, v[58:59], v[36:37] offset1:9
	v_pk_add_f32 v[36:37], v[24:25], v[20:21] op_sel:[0,1] op_sel_hi:[1,0] neg_lo:[0,1] neg_hi:[0,1]
	v_pk_add_f32 v[20:21], v[24:25], v[20:21] op_sel:[0,1] op_sel_hi:[1,0]
	v_mov_b32_e32 v24, v36
	scratch_load_dword v36, off, off offset:72 ; 4-byte Folded Reload
	v_mov_b32_e32 v25, v21
	v_mov_b32_e32 v21, v37
	v_pk_add_f32 v[18:19], v[32:33], v[18:19]
	v_pk_add_f32 v[54:55], v[54:55], v[196:197]
	;; [unrolled: 1-line block ×3, first 2 shown]
	v_mov_b32_e32 v18, v52
	v_mov_b32_e32 v19, v65
	v_pk_add_f32 v[12:13], v[34:35], v[12:13]
	v_mov_b32_e32 v65, v53
	v_pk_add_f32 v[12:13], v[12:13], v[14:15]
	v_mov_b32_e32 v14, v42
	v_mov_b32_e32 v15, v69
	v_pk_add_f32 v[10:11], v[28:29], v[10:11]
	v_mov_b32_e32 v69, v43
	v_pk_add_f32 v[8:9], v[10:11], v[8:9]
	;; [unrolled: 5-line block ×4, first 2 shown]
	v_mov_b32_e32 v2, v26
	v_mov_b32_e32 v3, v51
	;; [unrolled: 1-line block ×3, first 2 shown]
	s_waitcnt vmcnt(0)
	ds_write_b64 v36, v[20:21] offset:144
	v_accvgpr_read_b32 v20, a19
	ds_write2_b64 v36, v[54:55], v[24:25] offset1:9
	ds_write2_b64 v20, v[16:17], v[18:19] offset1:9
	v_accvgpr_read_b32 v16, a143
	ds_write_b64 v20, v[64:65] offset:144
	ds_write2_b64 v16, v[12:13], v[14:15] offset1:9
	v_accvgpr_read_b32 v12, a148
	ds_write_b64 v16, v[68:69] offset:144
	;; [unrolled: 3-line block ×4, first 2 shown]
	ds_write2_b64 v4, v[0:1], v[2:3] offset1:9
	ds_write_b64 v4, v[50:51] offset:144
	s_waitcnt lgkmcnt(0)
	; wave barrier
	s_waitcnt lgkmcnt(0)
	ds_read2_b64 v[0:3], v210 offset0:112 offset1:175
	ds_read2_b64 v[4:7], v205 offset0:120 offset1:183
	ds_read_b64 v[8:9], v228 offset:13104
	v_accvgpr_read_b32 v12, a188
	v_accvgpr_read_b32 v13, a189
	s_waitcnt lgkmcnt(2)
	v_pk_mul_f32 v[10:11], v[80:81], v[2:3]
	v_accvgpr_read_b32 v16, a190
	v_pk_fma_f32 v[28:29], v[12:13], v[2:3], v[10:11] op_sel:[0,0,1] op_sel_hi:[1,1,0]
	v_pk_fma_f32 v[2:3], v[12:13], v[2:3], v[10:11] op_sel:[0,0,1] op_sel_hi:[1,1,0] neg_lo:[0,0,1] neg_hi:[0,0,1]
	v_accvgpr_read_b32 v17, a191
	v_mov_b32_e32 v29, v3
	v_accvgpr_read_b32 v2, a230
	v_accvgpr_read_b32 v3, a231
	s_waitcnt lgkmcnt(0)
	v_pk_mul_f32 v[2:3], v[2:3], v[8:9]
	v_accvgpr_read_b32 v20, a198
	v_pk_fma_f32 v[30:31], v[82:83], v[8:9], v[2:3] op_sel:[0,0,1] op_sel_hi:[1,1,0]
	v_pk_fma_f32 v[2:3], v[82:83], v[8:9], v[2:3] op_sel:[0,0,1] op_sel_hi:[1,1,0] neg_lo:[0,0,1] neg_hi:[0,0,1]
	v_accvgpr_read_b32 v21, a199
	v_mov_b32_e32 v31, v3
	v_pk_add_f32 v[2:3], v[28:29], v[30:31]
	v_pk_add_f32 v[8:9], v[28:29], v[30:31] neg_lo:[0,1] neg_hi:[0,1]
	v_pk_fma_f32 v[2:3], v[2:3], 0.5, v[4:5] op_sel_hi:[1,0,1] neg_lo:[1,0,0] neg_hi:[1,0,0]
	v_pk_mul_f32 v[8:9], v[8:9], s[2:3] op_sel_hi:[1,0]
	v_accvgpr_read_b32 v24, a206
	v_pk_add_f32 v[32:33], v[2:3], v[8:9] op_sel:[0,1] op_sel_hi:[1,0]
	v_pk_add_f32 v[34:35], v[2:3], v[8:9] op_sel:[0,1] op_sel_hi:[1,0] neg_lo:[0,1] neg_hi:[0,1]
	ds_read2_b64 v[8:11], v192 offset0:122 offset1:185
	ds_read2_b64 v[12:15], v211 offset0:104 offset1:167
	v_pk_mul_f32 v[2:3], v[76:77], v[0:1]
	v_accvgpr_read_b32 v25, a207
	v_pk_fma_f32 v[36:37], v[16:17], v[0:1], v[2:3] op_sel:[0,0,1] op_sel_hi:[1,1,0]
	v_pk_fma_f32 v[0:1], v[16:17], v[0:1], v[2:3] op_sel:[0,0,1] op_sel_hi:[1,1,0] neg_lo:[0,0,1] neg_hi:[0,0,1]
	v_accvgpr_read_b32 v82, a214
	v_mov_b32_e32 v37, v1
	v_accvgpr_read_b32 v0, a192
	v_accvgpr_read_b32 v1, a193
	s_waitcnt lgkmcnt(0)
	v_pk_mul_f32 v[0:1], v[0:1], v[14:15]
	v_accvgpr_read_b32 v83, a215
	v_pk_fma_f32 v[38:39], v[78:79], v[14:15], v[0:1] op_sel:[0,0,1] op_sel_hi:[1,1,0]
	v_pk_fma_f32 v[0:1], v[78:79], v[14:15], v[0:1] op_sel:[0,0,1] op_sel_hi:[1,1,0] neg_lo:[0,0,1] neg_hi:[0,0,1]
	s_nop 0
	v_mov_b32_e32 v39, v1
	v_pk_add_f32 v[0:1], v[36:37], v[38:39]
	v_pk_add_f32 v[16:17], v[36:37], v[38:39] neg_lo:[0,1] neg_hi:[0,1]
	v_pk_fma_f32 v[14:15], v[0:1], 0.5, v[10:11] op_sel_hi:[1,0,1] neg_lo:[1,0,0] neg_hi:[1,0,0]
	ds_read2_b64 v[0:3], v204 offset0:114 offset1:177
	v_pk_mul_f32 v[16:17], v[16:17], s[2:3] op_sel_hi:[1,0]
	s_nop 0
	v_pk_add_f32 v[40:41], v[14:15], v[16:17] op_sel:[0,1] op_sel_hi:[1,0]
	v_pk_add_f32 v[42:43], v[14:15], v[16:17] op_sel:[0,1] op_sel_hi:[1,0] neg_lo:[0,1] neg_hi:[0,1]
	v_accvgpr_read_b32 v16, a196
	s_waitcnt lgkmcnt(0)
	v_pk_mul_f32 v[14:15], v[72:73], v[2:3]
	v_accvgpr_read_b32 v17, a197
	v_pk_fma_f32 v[44:45], v[16:17], v[2:3], v[14:15] op_sel:[0,0,1] op_sel_hi:[1,1,0]
	v_pk_fma_f32 v[2:3], v[16:17], v[2:3], v[14:15] op_sel:[0,0,1] op_sel_hi:[1,1,0] neg_lo:[0,0,1] neg_hi:[0,0,1]
	s_nop 0
	v_mov_b32_e32 v45, v3
	v_accvgpr_read_b32 v2, a186
	v_accvgpr_read_b32 v3, a187
	v_pk_mul_f32 v[2:3], v[2:3], v[12:13]
	s_nop 0
	v_pk_fma_f32 v[46:47], v[74:75], v[12:13], v[2:3] op_sel:[0,0,1] op_sel_hi:[1,1,0]
	v_pk_fma_f32 v[2:3], v[74:75], v[12:13], v[2:3] op_sel:[0,0,1] op_sel_hi:[1,1,0] neg_lo:[0,0,1] neg_hi:[0,0,1]
	s_nop 0
	v_mov_b32_e32 v47, v3
	v_pk_add_f32 v[2:3], v[44:45], v[46:47]
	v_pk_add_f32 v[12:13], v[44:45], v[46:47] neg_lo:[0,1] neg_hi:[0,1]
	v_pk_fma_f32 v[2:3], v[2:3], 0.5, v[8:9] op_sel_hi:[1,0,1] neg_lo:[1,0,0] neg_hi:[1,0,0]
	v_pk_mul_f32 v[12:13], v[12:13], s[2:3] op_sel_hi:[1,0]
	s_nop 0
	v_pk_add_f32 v[48:49], v[2:3], v[12:13] op_sel:[0,1] op_sel_hi:[1,0]
	v_pk_add_f32 v[50:51], v[2:3], v[12:13] op_sel:[0,1] op_sel_hi:[1,0] neg_lo:[0,1] neg_hi:[0,1]
	ds_read2_b64 v[12:15], v253 offset0:124 offset1:187
	ds_read2_b64 v[16:19], v201 offset0:106 offset1:169
	v_pk_mul_f32 v[2:3], v[88:89], v[0:1]
	s_nop 0
	v_pk_fma_f32 v[52:53], v[20:21], v[0:1], v[2:3] op_sel:[0,0,1] op_sel_hi:[1,1,0]
	v_pk_fma_f32 v[0:1], v[20:21], v[0:1], v[2:3] op_sel:[0,0,1] op_sel_hi:[1,1,0] neg_lo:[0,0,1] neg_hi:[0,0,1]
	s_nop 0
	v_mov_b32_e32 v53, v1
	v_accvgpr_read_b32 v0, a200
	v_accvgpr_read_b32 v1, a201
	s_waitcnt lgkmcnt(0)
	v_pk_mul_f32 v[0:1], v[0:1], v[18:19]
	s_nop 0
	v_pk_fma_f32 v[54:55], v[90:91], v[18:19], v[0:1] op_sel:[0,0,1] op_sel_hi:[1,1,0]
	v_pk_fma_f32 v[0:1], v[90:91], v[18:19], v[0:1] op_sel:[0,0,1] op_sel_hi:[1,1,0] neg_lo:[0,0,1] neg_hi:[0,0,1]
	s_nop 0
	v_mov_b32_e32 v55, v1
	v_pk_add_f32 v[0:1], v[52:53], v[54:55]
	v_pk_add_f32 v[20:21], v[52:53], v[54:55] neg_lo:[0,1] neg_hi:[0,1]
	v_pk_fma_f32 v[18:19], v[0:1], 0.5, v[14:15] op_sel_hi:[1,0,1] neg_lo:[1,0,0] neg_hi:[1,0,0]
	ds_read2_b64 v[0:3], v229 offset0:116 offset1:179
	v_pk_mul_f32 v[20:21], v[20:21], s[2:3] op_sel_hi:[1,0]
	s_nop 0
	v_pk_add_f32 v[56:57], v[18:19], v[20:21] op_sel:[0,1] op_sel_hi:[1,0]
	v_pk_add_f32 v[58:59], v[18:19], v[20:21] op_sel:[0,1] op_sel_hi:[1,0] neg_lo:[0,1] neg_hi:[0,1]
	v_accvgpr_read_b32 v20, a202
	s_waitcnt lgkmcnt(0)
	v_pk_mul_f32 v[18:19], v[84:85], v[2:3]
	v_accvgpr_read_b32 v21, a203
	v_pk_fma_f32 v[60:61], v[20:21], v[2:3], v[18:19] op_sel:[0,0,1] op_sel_hi:[1,1,0]
	v_pk_fma_f32 v[2:3], v[20:21], v[2:3], v[18:19] op_sel:[0,0,1] op_sel_hi:[1,1,0] neg_lo:[0,0,1] neg_hi:[0,0,1]
	v_accvgpr_read_b32 v84, a218
	v_mov_b32_e32 v61, v3
	v_accvgpr_read_b32 v2, a194
	v_accvgpr_read_b32 v3, a195
	v_pk_mul_f32 v[2:3], v[2:3], v[16:17]
	v_accvgpr_read_b32 v85, a219
	v_pk_fma_f32 v[62:63], v[86:87], v[16:17], v[2:3] op_sel:[0,0,1] op_sel_hi:[1,1,0]
	v_pk_fma_f32 v[2:3], v[86:87], v[16:17], v[2:3] op_sel:[0,0,1] op_sel_hi:[1,1,0] neg_lo:[0,0,1] neg_hi:[0,0,1]
	s_nop 0
	v_mov_b32_e32 v63, v3
	v_pk_add_f32 v[2:3], v[60:61], v[62:63]
	v_pk_add_f32 v[16:17], v[60:61], v[62:63] neg_lo:[0,1] neg_hi:[0,1]
	v_pk_fma_f32 v[2:3], v[2:3], 0.5, v[12:13] op_sel_hi:[1,0,1] neg_lo:[1,0,0] neg_hi:[1,0,0]
	v_pk_mul_f32 v[16:17], v[16:17], s[2:3] op_sel_hi:[1,0]
	s_nop 0
	v_pk_add_f32 v[64:65], v[2:3], v[16:17] op_sel:[0,1] op_sel_hi:[1,0]
	v_pk_add_f32 v[66:67], v[2:3], v[16:17] op_sel:[0,1] op_sel_hi:[1,0] neg_lo:[0,1] neg_hi:[0,1]
	ds_read2_b64 v[16:19], v228 offset0:126 offset1:189
	ds_read2_b64 v[20:23], v200 offset0:108 offset1:171
	v_pk_mul_f32 v[2:3], v[96:97], v[0:1]
	s_nop 0
	v_pk_fma_f32 v[68:69], v[24:25], v[0:1], v[2:3] op_sel:[0,0,1] op_sel_hi:[1,1,0]
	v_pk_fma_f32 v[0:1], v[24:25], v[0:1], v[2:3] op_sel:[0,0,1] op_sel_hi:[1,1,0] neg_lo:[0,0,1] neg_hi:[0,0,1]
	s_nop 0
	v_mov_b32_e32 v69, v1
	v_accvgpr_read_b32 v0, a208
	v_accvgpr_read_b32 v1, a209
	s_waitcnt lgkmcnt(0)
	v_pk_mul_f32 v[24:25], v[0:1], v[22:23]
	ds_read2_b64 v[0:3], v213 offset0:118 offset1:181
	v_pk_fma_f32 v[70:71], v[98:99], v[22:23], v[24:25] op_sel:[0,0,1] op_sel_hi:[1,1,0]
	v_pk_fma_f32 v[22:23], v[98:99], v[22:23], v[24:25] op_sel:[0,0,1] op_sel_hi:[1,1,0] neg_lo:[0,0,1] neg_hi:[0,0,1]
	v_accvgpr_read_b32 v24, a210
	v_mov_b32_e32 v71, v23
	v_pk_add_f32 v[22:23], v[18:19], v[68:69]
	v_accvgpr_read_b32 v25, a211
	v_pk_add_f32 v[72:73], v[22:23], v[70:71]
	s_waitcnt lgkmcnt(0)
	v_pk_mul_f32 v[22:23], v[92:93], v[2:3]
	v_pk_mul_f32 v[78:79], v[104:105], v[0:1]
	v_pk_fma_f32 v[74:75], v[24:25], v[2:3], v[22:23] op_sel:[0,0,1] op_sel_hi:[1,1,0]
	v_pk_fma_f32 v[2:3], v[24:25], v[2:3], v[22:23] op_sel:[0,0,1] op_sel_hi:[1,1,0] neg_lo:[0,0,1] neg_hi:[0,0,1]
	v_pk_fma_f32 v[80:81], v[82:83], v[0:1], v[78:79] op_sel:[0,0,1] op_sel_hi:[1,1,0]
	v_mov_b32_e32 v75, v3
	v_accvgpr_read_b32 v2, a204
	v_accvgpr_read_b32 v3, a205
	v_pk_mul_f32 v[2:3], v[2:3], v[20:21]
	v_pk_fma_f32 v[0:1], v[82:83], v[0:1], v[78:79] op_sel:[0,0,1] op_sel_hi:[1,1,0] neg_lo:[0,0,1] neg_hi:[0,0,1]
	v_pk_fma_f32 v[76:77], v[94:95], v[20:21], v[2:3] op_sel:[0,0,1] op_sel_hi:[1,1,0]
	v_pk_fma_f32 v[2:3], v[94:95], v[20:21], v[2:3] op_sel:[0,0,1] op_sel_hi:[1,1,0] neg_lo:[0,0,1] neg_hi:[0,0,1]
	ds_read2_b64 v[20:23], v228 offset1:63
	ds_read2_b64 v[24:27], v212 offset0:110 offset1:173
	v_mov_b32_e32 v81, v1
	v_accvgpr_read_b32 v0, a216
	v_accvgpr_read_b32 v1, a217
	s_waitcnt lgkmcnt(0)
	v_pk_mul_f32 v[0:1], v[0:1], v[26:27]
	; wave barrier
	s_nop 0
	v_pk_fma_f32 v[78:79], v[106:107], v[26:27], v[0:1] op_sel:[0,0,1] op_sel_hi:[1,1,0]
	v_pk_fma_f32 v[0:1], v[106:107], v[26:27], v[0:1] op_sel:[0,0,1] op_sel_hi:[1,1,0] neg_lo:[0,0,1] neg_hi:[0,0,1]
	v_pk_mul_f32 v[26:27], v[100:101], v[6:7]
	v_mov_b32_e32 v79, v1
	v_pk_fma_f32 v[82:83], v[84:85], v[6:7], v[26:27] op_sel:[0,0,1] op_sel_hi:[1,1,0]
	v_pk_fma_f32 v[6:7], v[84:85], v[6:7], v[26:27] op_sel:[0,0,1] op_sel_hi:[1,1,0] neg_lo:[0,0,1] neg_hi:[0,0,1]
	v_pk_add_f32 v[0:1], v[22:23], v[80:81]
	v_mov_b32_e32 v83, v7
	v_accvgpr_read_b32 v6, a212
	v_accvgpr_read_b32 v7, a213
	v_pk_mul_f32 v[6:7], v[6:7], v[24:25]
	v_mov_b32_e32 v77, v3
	v_pk_fma_f32 v[26:27], v[102:103], v[24:25], v[6:7] op_sel:[0,0,1] op_sel_hi:[1,1,0]
	v_pk_fma_f32 v[6:7], v[102:103], v[24:25], v[6:7] op_sel:[0,0,1] op_sel_hi:[1,1,0] neg_lo:[0,0,1] neg_hi:[0,0,1]
	v_pk_add_f32 v[0:1], v[0:1], v[78:79]
	v_mov_b32_e32 v27, v7
	v_pk_add_f32 v[24:25], v[82:83], v[26:27]
	v_pk_add_f32 v[6:7], v[20:21], v[82:83]
	v_pk_fma_f32 v[20:21], v[24:25], 0.5, v[20:21] op_sel_hi:[1,0,1] neg_lo:[1,0,0] neg_hi:[1,0,0]
	v_pk_add_f32 v[24:25], v[82:83], v[26:27] neg_lo:[0,1] neg_hi:[0,1]
	v_pk_add_f32 v[6:7], v[6:7], v[26:27]
	v_pk_mul_f32 v[24:25], v[24:25], s[2:3] op_sel_hi:[1,0]
	v_pk_add_f32 v[2:3], v[16:17], v[74:75]
	v_pk_add_f32 v[26:27], v[20:21], v[24:25] op_sel:[0,1] op_sel_hi:[1,0] neg_lo:[0,1] neg_hi:[0,1]
	v_pk_add_f32 v[20:21], v[20:21], v[24:25] op_sel:[0,1] op_sel_hi:[1,0]
	v_mov_b32_e32 v24, v26
	v_mov_b32_e32 v25, v21
	v_accvgpr_read_b32 v26, a179
	v_mov_b32_e32 v21, v27
	ds_write2_b64 v26, v[6:7], v[24:25] offset1:27
	ds_write_b64 v26, v[20:21] offset:432
	v_pk_add_f32 v[6:7], v[80:81], v[78:79]
	v_pk_add_f32 v[20:21], v[80:81], v[78:79] neg_lo:[0,1] neg_hi:[0,1]
	v_pk_fma_f32 v[6:7], v[6:7], 0.5, v[22:23] op_sel_hi:[1,0,1] neg_lo:[1,0,0] neg_hi:[1,0,0]
	v_pk_mul_f32 v[20:21], v[20:21], s[2:3] op_sel_hi:[1,0]
	v_pk_add_f32 v[2:3], v[2:3], v[76:77]
	v_pk_add_f32 v[22:23], v[6:7], v[20:21] op_sel:[0,1] op_sel_hi:[1,0] neg_lo:[0,1] neg_hi:[0,1]
	v_pk_add_f32 v[6:7], v[6:7], v[20:21] op_sel:[0,1] op_sel_hi:[1,0]
	v_mov_b32_e32 v20, v22
	v_mov_b32_e32 v21, v7
	v_accvgpr_read_b32 v22, a220
	v_mov_b32_e32 v7, v23
	ds_write2_b64 v22, v[0:1], v[20:21] offset1:27
	ds_write_b64 v22, v[6:7] offset:432
	v_pk_add_f32 v[0:1], v[74:75], v[76:77]
	v_pk_add_f32 v[6:7], v[74:75], v[76:77] neg_lo:[0,1] neg_hi:[0,1]
	v_pk_fma_f32 v[0:1], v[0:1], 0.5, v[16:17] op_sel_hi:[1,0,1] neg_lo:[1,0,0] neg_hi:[1,0,0]
	v_pk_mul_f32 v[6:7], v[6:7], s[2:3] op_sel_hi:[1,0]
	v_accvgpr_read_b32 v26, a130
	v_pk_add_f32 v[16:17], v[0:1], v[6:7] op_sel:[0,1] op_sel_hi:[1,0] neg_lo:[0,1] neg_hi:[0,1]
	v_pk_add_f32 v[0:1], v[0:1], v[6:7] op_sel:[0,1] op_sel_hi:[1,0]
	v_mov_b32_e32 v6, v16
	v_mov_b32_e32 v7, v1
	v_accvgpr_read_b32 v16, a221
	v_mov_b32_e32 v1, v17
	ds_write2_b64 v16, v[2:3], v[6:7] offset1:27
	ds_write_b64 v16, v[0:1] offset:432
	v_pk_add_f32 v[0:1], v[68:69], v[70:71]
	v_pk_add_f32 v[2:3], v[68:69], v[70:71] neg_lo:[0,1] neg_hi:[0,1]
	v_pk_fma_f32 v[0:1], v[0:1], 0.5, v[18:19] op_sel_hi:[1,0,1] neg_lo:[1,0,0] neg_hi:[1,0,0]
	v_pk_mul_f32 v[2:3], v[2:3], s[2:3] op_sel_hi:[1,0]
	v_accvgpr_read_b32 v16, a144
	v_pk_add_f32 v[6:7], v[0:1], v[2:3] op_sel:[0,1] op_sel_hi:[1,0] neg_lo:[0,1] neg_hi:[0,1]
	v_pk_add_f32 v[0:1], v[0:1], v[2:3] op_sel:[0,1] op_sel_hi:[1,0]
	v_mov_b32_e32 v2, v6
	v_mov_b32_e32 v3, v1
	v_accvgpr_read_b32 v6, a222
	v_mov_b32_e32 v1, v7
	ds_write_b64 v6, v[0:1] offset:432
	v_pk_add_f32 v[0:1], v[12:13], v[60:61]
	ds_write2_b64 v6, v[72:73], v[2:3] offset1:27
	v_pk_add_f32 v[0:1], v[0:1], v[62:63]
	v_mov_b32_e32 v2, v66
	v_mov_b32_e32 v3, v65
	v_accvgpr_read_b32 v6, a223
	ds_write2_b64 v6, v[0:1], v[2:3] offset1:27
	v_mov_b32_e32 v65, v67
	v_pk_add_f32 v[0:1], v[14:15], v[52:53]
	ds_write_b64 v6, v[64:65] offset:432
	v_pk_add_f32 v[0:1], v[0:1], v[54:55]
	v_mov_b32_e32 v2, v58
	v_mov_b32_e32 v3, v57
	v_accvgpr_read_b32 v6, a226
	ds_write2_b64 v6, v[0:1], v[2:3] offset1:27
	v_mov_b32_e32 v57, v59
	v_pk_add_f32 v[0:1], v[8:9], v[44:45]
	ds_write_b64 v6, v[56:57] offset:432
	;; [unrolled: 8-line block ×3, first 2 shown]
	v_pk_add_f32 v[0:1], v[0:1], v[38:39]
	v_mov_b32_e32 v2, v42
	v_mov_b32_e32 v3, v41
	v_accvgpr_read_b32 v6, a228
	ds_write2_b64 v6, v[0:1], v[2:3] offset1:27
	v_pk_add_f32 v[0:1], v[4:5], v[28:29]
	v_mov_b32_e32 v41, v43
	v_pk_add_f32 v[0:1], v[0:1], v[30:31]
	v_mov_b32_e32 v2, v34
	v_mov_b32_e32 v3, v33
	v_accvgpr_read_b32 v4, a229
	v_mov_b32_e32 v33, v35
	ds_write_b64 v6, v[40:41] offset:432
	ds_write2_b64 v4, v[0:1], v[2:3] offset1:27
	ds_write_b64 v4, v[32:33] offset:432
	s_waitcnt lgkmcnt(0)
	; wave barrier
	s_waitcnt lgkmcnt(0)
	ds_read2_b64 v[0:3], v210 offset0:112 offset1:175
	ds_read_b64 v[8:9], v228 offset:13104
	ds_read2_b64 v[10:13], v192 offset0:122 offset1:185
	ds_read2_b64 v[4:7], v211 offset0:104 offset1:167
	v_accvgpr_read_b32 v17, a145
	s_waitcnt lgkmcnt(3)
	v_pk_mul_f32 v[14:15], v[140:141], v[0:1]
	v_accvgpr_read_b32 v27, a131
	v_pk_fma_f32 v[34:35], v[16:17], v[0:1], v[14:15] op_sel:[0,0,1] op_sel_hi:[1,1,0]
	v_pk_fma_f32 v[0:1], v[16:17], v[0:1], v[14:15] op_sel:[0,0,1] op_sel_hi:[1,1,0] neg_lo:[0,0,1] neg_hi:[0,0,1]
	ds_read2_b64 v[14:17], v205 offset0:120 offset1:183
	v_mov_b32_e32 v35, v1
	v_accvgpr_read_b32 v0, a134
	v_accvgpr_read_b32 v1, a135
	s_waitcnt lgkmcnt(1)
	v_pk_mul_f32 v[0:1], v[0:1], v[6:7]
	v_accvgpr_read_b32 v30, a64
	v_pk_fma_f32 v[36:37], v[142:143], v[6:7], v[0:1] op_sel:[0,0,1] op_sel_hi:[1,1,0]
	v_pk_fma_f32 v[0:1], v[142:143], v[6:7], v[0:1] op_sel:[0,0,1] op_sel_hi:[1,1,0] neg_lo:[0,0,1] neg_hi:[0,0,1]
	v_pk_mul_f32 v[6:7], v[136:137], v[2:3] op_sel:[0,1]
	v_accvgpr_read_b32 v31, a65
	v_pk_fma_f32 v[18:19], v[136:137], v[2:3], v[6:7] op_sel:[0,0,1] op_sel_hi:[1,0,0] neg_lo:[1,0,0] neg_hi:[1,0,0]
	v_pk_fma_f32 v[2:3], v[136:137], v[2:3], v[6:7] op_sel:[0,0,1] op_sel_hi:[1,0,0]
	v_pk_mul_f32 v[6:7], v[138:139], v[8:9] op_sel:[0,1]
	v_mov_b32_e32 v3, v19
	v_pk_fma_f32 v[18:19], v[138:139], v[8:9], v[6:7] op_sel:[0,0,1] op_sel_hi:[1,0,0] neg_lo:[1,0,0] neg_hi:[1,0,0]
	v_pk_fma_f32 v[6:7], v[138:139], v[8:9], v[6:7] op_sel:[0,0,1] op_sel_hi:[1,0,0]
	v_accvgpr_read_b32 v72, a236
	v_mov_b32_e32 v7, v19
	v_pk_add_f32 v[8:9], v[2:3], v[6:7]
	ds_read2_b64 v[18:21], v228 offset1:63
	ds_read2_b64 v[22:25], v212 offset0:110 offset1:173
	s_waitcnt lgkmcnt(2)
	v_pk_fma_f32 v[38:39], v[8:9], 0.5, v[14:15] op_sel_hi:[1,0,1] neg_lo:[1,0,0] neg_hi:[1,0,0]
	v_pk_add_f32 v[8:9], v[2:3], v[6:7] neg_lo:[0,1] neg_hi:[0,1]
	v_pk_add_f32 v[2:3], v[14:15], v[2:3]
	v_pk_mul_f32 v[40:41], v[8:9], s[2:3] op_sel_hi:[1,0]
	v_pk_add_f32 v[6:7], v[2:3], v[6:7]
	v_pk_add_f32 v[2:3], v[38:39], v[40:41] op_sel:[0,1] op_sel_hi:[1,0]
	v_pk_add_f32 v[8:9], v[38:39], v[40:41] op_sel:[0,1] op_sel_hi:[1,0] neg_lo:[0,1] neg_hi:[0,1]
	v_accvgpr_read_b32 v14, a252
	v_mov_b32_e32 v9, v3
	v_pk_mul_f32 v[2:3], v[128:129], v[16:17]
	v_accvgpr_read_b32 v15, a253
	v_pk_fma_f32 v[42:43], v[14:15], v[16:17], v[2:3] op_sel:[0,0,1] op_sel_hi:[1,1,0]
	v_pk_fma_f32 v[2:3], v[14:15], v[16:17], v[2:3] op_sel:[0,0,1] op_sel_hi:[1,1,0] neg_lo:[0,0,1] neg_hi:[0,0,1]
	ds_read2_b64 v[14:17], v204 offset0:114 offset1:177
	v_mov_b32_e32 v43, v3
	v_accvgpr_read_b32 v2, a250
	v_accvgpr_read_b32 v3, a251
	s_waitcnt lgkmcnt(1)
	v_pk_mul_f32 v[2:3], v[2:3], v[22:23]
	v_accvgpr_read_b32 v73, a237
	v_pk_fma_f32 v[44:45], v[130:131], v[22:23], v[2:3] op_sel:[0,0,1] op_sel_hi:[1,1,0]
	v_pk_fma_f32 v[2:3], v[130:131], v[22:23], v[2:3] op_sel:[0,0,1] op_sel_hi:[1,1,0] neg_lo:[0,0,1] neg_hi:[0,0,1]
	v_accvgpr_read_b32 v78, a240
	v_mov_b32_e32 v45, v3
	v_pk_add_f32 v[2:3], v[18:19], v[42:43]
	v_accvgpr_read_b32 v79, a241
	v_pk_add_f32 v[22:23], v[2:3], v[44:45]
	s_waitcnt lgkmcnt(0)
	v_pk_mul_f32 v[2:3], v[132:133], v[16:17]
	v_accvgpr_read_b32 v80, a242
	v_pk_fma_f32 v[46:47], v[26:27], v[16:17], v[2:3] op_sel:[0,0,1] op_sel_hi:[1,1,0]
	v_pk_fma_f32 v[2:3], v[26:27], v[16:17], v[2:3] op_sel:[0,0,1] op_sel_hi:[1,1,0] neg_lo:[0,0,1] neg_hi:[0,0,1]
	v_pk_mul_f32 v[16:17], v[124:125], v[14:15]
	v_mov_b32_e32 v47, v3
	v_accvgpr_read_b32 v2, a80
	v_accvgpr_read_b32 v3, a81
	v_pk_mul_f32 v[2:3], v[2:3], v[4:5]
	v_pk_fma_f32 v[54:55], v[30:31], v[14:15], v[16:17] op_sel:[0,0,1] op_sel_hi:[1,1,0]
	v_pk_fma_f32 v[48:49], v[134:135], v[4:5], v[2:3] op_sel:[0,0,1] op_sel_hi:[1,1,0]
	v_pk_fma_f32 v[2:3], v[134:135], v[4:5], v[2:3] op_sel:[0,0,1] op_sel_hi:[1,1,0] neg_lo:[0,0,1] neg_hi:[0,0,1]
	v_pk_fma_f32 v[14:15], v[30:31], v[14:15], v[16:17] op_sel:[0,0,1] op_sel_hi:[1,1,0] neg_lo:[0,0,1] neg_hi:[0,0,1]
	v_mov_b32_e32 v49, v3
	v_pk_add_f32 v[2:3], v[46:47], v[48:49]
	v_pk_add_f32 v[4:5], v[46:47], v[48:49] neg_lo:[0,1] neg_hi:[0,1]
	v_pk_fma_f32 v[2:3], v[2:3], 0.5, v[10:11] op_sel_hi:[1,0,1] neg_lo:[1,0,0] neg_hi:[1,0,0]
	v_pk_mul_f32 v[4:5], v[4:5], s[2:3] op_sel_hi:[1,0]
	v_mov_b32_e32 v55, v15
	v_pk_add_f32 v[50:51], v[2:3], v[4:5] op_sel:[0,1] op_sel_hi:[1,0]
	v_pk_add_f32 v[52:53], v[2:3], v[4:5] op_sel:[0,1] op_sel_hi:[1,0] neg_lo:[0,1] neg_hi:[0,1]
	ds_read2_b64 v[2:5], v253 offset0:124 offset1:187
	ds_read2_b64 v[26:29], v201 offset0:106 offset1:169
	v_accvgpr_read_b32 v14, a66
	v_accvgpr_read_b32 v15, a67
	;; [unrolled: 1-line block ×3, first 2 shown]
	v_mov_b32_e32 v37, v1
	s_waitcnt lgkmcnt(0)
	v_pk_mul_f32 v[14:15], v[14:15], v[28:29]
	v_pk_add_f32 v[0:1], v[12:13], v[34:35]
	v_pk_fma_f32 v[56:57], v[126:127], v[28:29], v[14:15] op_sel:[0,0,1] op_sel_hi:[1,1,0]
	v_pk_fma_f32 v[14:15], v[126:127], v[28:29], v[14:15] op_sel:[0,0,1] op_sel_hi:[1,1,0] neg_lo:[0,0,1] neg_hi:[0,0,1]
	v_pk_add_f32 v[0:1], v[0:1], v[36:37]
	v_mov_b32_e32 v57, v15
	v_pk_add_f32 v[14:15], v[54:55], v[56:57]
	v_pk_add_f32 v[30:31], v[54:55], v[56:57] neg_lo:[0,1] neg_hi:[0,1]
	v_pk_fma_f32 v[28:29], v[14:15], 0.5, v[4:5] op_sel_hi:[1,0,1] neg_lo:[1,0,0] neg_hi:[1,0,0]
	ds_read2_b64 v[14:17], v229 offset0:116 offset1:179
	v_pk_mul_f32 v[30:31], v[30:31], s[2:3] op_sel_hi:[1,0]
	s_nop 0
	v_pk_add_f32 v[58:59], v[28:29], v[30:31] op_sel:[0,1] op_sel_hi:[1,0]
	v_pk_add_f32 v[60:61], v[28:29], v[30:31] op_sel:[0,1] op_sel_hi:[1,0] neg_lo:[0,1] neg_hi:[0,1]
	v_accvgpr_read_b32 v30, a234
	s_waitcnt lgkmcnt(0)
	v_pk_mul_f32 v[28:29], v[116:117], v[16:17]
	v_accvgpr_read_b32 v31, a235
	v_pk_fma_f32 v[62:63], v[30:31], v[16:17], v[28:29] op_sel:[0,0,1] op_sel_hi:[1,1,0]
	v_pk_fma_f32 v[16:17], v[30:31], v[16:17], v[28:29] op_sel:[0,0,1] op_sel_hi:[1,1,0] neg_lo:[0,0,1] neg_hi:[0,0,1]
	s_nop 0
	v_mov_b32_e32 v63, v17
	v_accvgpr_read_b32 v16, a68
	v_accvgpr_read_b32 v17, a69
	v_pk_mul_f32 v[16:17], v[16:17], v[26:27]
	s_nop 0
	v_pk_fma_f32 v[64:65], v[118:119], v[26:27], v[16:17] op_sel:[0,0,1] op_sel_hi:[1,1,0]
	v_pk_fma_f32 v[16:17], v[118:119], v[26:27], v[16:17] op_sel:[0,0,1] op_sel_hi:[1,1,0] neg_lo:[0,0,1] neg_hi:[0,0,1]
	s_nop 0
	v_mov_b32_e32 v65, v17
	v_pk_add_f32 v[16:17], v[62:63], v[64:65]
	v_pk_add_f32 v[26:27], v[62:63], v[64:65] neg_lo:[0,1] neg_hi:[0,1]
	v_pk_fma_f32 v[16:17], v[16:17], 0.5, v[2:3] op_sel_hi:[1,0,1] neg_lo:[1,0,0] neg_hi:[1,0,0]
	v_pk_mul_f32 v[26:27], v[26:27], s[2:3] op_sel_hi:[1,0]
	v_pk_add_f32 v[2:3], v[2:3], v[62:63]
	v_pk_add_f32 v[66:67], v[16:17], v[26:27] op_sel:[0,1] op_sel_hi:[1,0]
	v_pk_add_f32 v[68:69], v[16:17], v[26:27] op_sel:[0,1] op_sel_hi:[1,0] neg_lo:[0,1] neg_hi:[0,1]
	ds_read2_b64 v[26:29], v228 offset0:126 offset1:189
	ds_read2_b64 v[30:33], v200 offset0:108 offset1:171
	v_pk_mul_f32 v[16:17], v[112:113], v[14:15]
	v_pk_add_f32 v[2:3], v[2:3], v[64:65]
	v_pk_fma_f32 v[70:71], v[72:73], v[14:15], v[16:17] op_sel:[0,0,1] op_sel_hi:[1,1,0]
	v_pk_fma_f32 v[14:15], v[72:73], v[14:15], v[16:17] op_sel:[0,0,1] op_sel_hi:[1,1,0] neg_lo:[0,0,1] neg_hi:[0,0,1]
	s_nop 0
	v_mov_b32_e32 v71, v15
	v_accvgpr_read_b32 v14, a238
	v_accvgpr_read_b32 v15, a239
	s_waitcnt lgkmcnt(0)
	v_pk_mul_f32 v[72:73], v[14:15], v[32:33]
	ds_read2_b64 v[14:17], v213 offset0:118 offset1:181
	v_pk_fma_f32 v[74:75], v[114:115], v[32:33], v[72:73] op_sel:[0,0,1] op_sel_hi:[1,1,0]
	v_pk_fma_f32 v[32:33], v[114:115], v[32:33], v[72:73] op_sel:[0,0,1] op_sel_hi:[1,1,0] neg_lo:[0,0,1] neg_hi:[0,0,1]
	s_waitcnt lgkmcnt(0)
	; wave barrier
	s_waitcnt lgkmcnt(0)
	v_pk_mul_f32 v[72:73], v[108:109], v[16:17]
	v_mov_b32_e32 v75, v33
	v_pk_fma_f32 v[76:77], v[78:79], v[16:17], v[72:73] op_sel:[0,0,1] op_sel_hi:[1,1,0]
	v_pk_fma_f32 v[16:17], v[78:79], v[16:17], v[72:73] op_sel:[0,0,1] op_sel_hi:[1,1,0] neg_lo:[0,0,1] neg_hi:[0,0,1]
	v_pk_add_f32 v[32:33], v[28:29], v[70:71]
	v_mov_b32_e32 v77, v17
	v_accvgpr_read_b32 v16, a232
	v_accvgpr_read_b32 v17, a233
	v_pk_mul_f32 v[16:17], v[16:17], v[30:31]
	v_pk_add_f32 v[32:33], v[32:33], v[74:75]
	v_pk_fma_f32 v[72:73], v[110:111], v[30:31], v[16:17] op_sel:[0,0,1] op_sel_hi:[1,1,0]
	v_pk_fma_f32 v[16:17], v[110:111], v[30:31], v[16:17] op_sel:[0,0,1] op_sel_hi:[1,1,0] neg_lo:[0,0,1] neg_hi:[0,0,1]
	v_pk_mul_f32 v[30:31], v[120:121], v[14:15]
	v_mov_b32_e32 v73, v17
	v_pk_fma_f32 v[78:79], v[80:81], v[14:15], v[30:31] op_sel:[0,0,1] op_sel_hi:[1,1,0]
	v_pk_fma_f32 v[14:15], v[80:81], v[14:15], v[30:31] op_sel:[0,0,1] op_sel_hi:[1,1,0] neg_lo:[0,0,1] neg_hi:[0,0,1]
	v_pk_add_f32 v[16:17], v[26:27], v[76:77]
	v_mov_b32_e32 v79, v15
	v_accvgpr_read_b32 v14, a244
	v_accvgpr_read_b32 v15, a245
	v_pk_mul_f32 v[14:15], v[14:15], v[24:25]
	v_pk_add_f32 v[16:17], v[16:17], v[72:73]
	v_pk_fma_f32 v[30:31], v[122:123], v[24:25], v[14:15] op_sel:[0,0,1] op_sel_hi:[1,1,0]
	v_pk_fma_f32 v[14:15], v[122:123], v[24:25], v[14:15] op_sel:[0,0,1] op_sel_hi:[1,1,0] neg_lo:[0,0,1] neg_hi:[0,0,1]
	v_pk_add_f32 v[24:25], v[42:43], v[44:45]
	v_mov_b32_e32 v31, v15
	v_pk_fma_f32 v[18:19], v[24:25], 0.5, v[18:19] op_sel_hi:[1,0,1] neg_lo:[1,0,0] neg_hi:[1,0,0]
	v_pk_add_f32 v[24:25], v[42:43], v[44:45] neg_lo:[0,1] neg_hi:[0,1]
	v_pk_add_f32 v[14:15], v[20:21], v[78:79]
	v_pk_mul_f32 v[24:25], v[24:25], s[2:3] op_sel_hi:[1,0]
	v_pk_add_f32 v[14:15], v[14:15], v[30:31]
	v_pk_add_f32 v[42:43], v[18:19], v[24:25] op_sel:[0,1] op_sel_hi:[1,0]
	v_pk_add_f32 v[18:19], v[18:19], v[24:25] op_sel:[0,1] op_sel_hi:[1,0] neg_lo:[0,1] neg_hi:[0,1]
	v_mov_b32_e32 v25, v43
	v_mov_b32_e32 v24, v18
	;; [unrolled: 1-line block ×3, first 2 shown]
	v_pk_add_f32 v[18:19], v[78:79], v[30:31]
	ds_write2_b64 v228, v[22:23], v[24:25] offset1:81
	v_pk_fma_f32 v[18:19], v[18:19], 0.5, v[20:21] op_sel_hi:[1,0,1] neg_lo:[1,0,0] neg_hi:[1,0,0]
	v_pk_add_f32 v[20:21], v[78:79], v[30:31] neg_lo:[0,1] neg_hi:[0,1]
	ds_write_b64 v228, v[42:43] offset:1296
	v_pk_mul_f32 v[20:21], v[20:21], s[2:3] op_sel_hi:[1,0]
	s_nop 0
	v_pk_add_f32 v[22:23], v[18:19], v[20:21] op_sel:[0,1] op_sel_hi:[1,0] neg_lo:[0,1] neg_hi:[0,1]
	v_pk_add_f32 v[18:19], v[18:19], v[20:21] op_sel:[0,1] op_sel_hi:[1,0]
	v_mov_b32_e32 v20, v22
	v_mov_b32_e32 v21, v19
	v_accvgpr_read_b32 v22, a246
	v_mov_b32_e32 v19, v23
	ds_write2_b64 v22, v[14:15], v[20:21] offset1:81
	ds_write_b64 v22, v[18:19] offset:1296
	v_pk_add_f32 v[14:15], v[76:77], v[72:73]
	v_pk_add_f32 v[18:19], v[76:77], v[72:73] neg_lo:[0,1] neg_hi:[0,1]
	v_pk_fma_f32 v[14:15], v[14:15], 0.5, v[26:27] op_sel_hi:[1,0,1] neg_lo:[1,0,0] neg_hi:[1,0,0]
	v_pk_mul_f32 v[18:19], v[18:19], s[2:3] op_sel_hi:[1,0]
	s_nop 0
	v_pk_add_f32 v[20:21], v[14:15], v[18:19] op_sel:[0,1] op_sel_hi:[1,0] neg_lo:[0,1] neg_hi:[0,1]
	v_pk_add_f32 v[14:15], v[14:15], v[18:19] op_sel:[0,1] op_sel_hi:[1,0]
	v_mov_b32_e32 v18, v20
	v_mov_b32_e32 v19, v15
	v_accvgpr_read_b32 v20, a247
	v_mov_b32_e32 v15, v21
	ds_write2_b64 v20, v[16:17], v[18:19] offset1:81
	ds_write_b64 v20, v[14:15] offset:1296
	v_pk_add_f32 v[14:15], v[70:71], v[74:75]
	v_pk_add_f32 v[16:17], v[70:71], v[74:75] neg_lo:[0,1] neg_hi:[0,1]
	v_pk_fma_f32 v[14:15], v[14:15], 0.5, v[28:29] op_sel_hi:[1,0,1] neg_lo:[1,0,0] neg_hi:[1,0,0]
	v_pk_mul_f32 v[16:17], v[16:17], s[2:3] op_sel_hi:[1,0]
	s_nop 0
	v_pk_add_f32 v[18:19], v[14:15], v[16:17] op_sel:[0,1] op_sel_hi:[1,0] neg_lo:[0,1] neg_hi:[0,1]
	v_pk_add_f32 v[14:15], v[14:15], v[16:17] op_sel:[0,1] op_sel_hi:[1,0]
	v_mov_b32_e32 v16, v18
	v_mov_b32_e32 v17, v15
	v_accvgpr_read_b32 v18, a248
	ds_write2_b64 v18, v[32:33], v[16:17] offset1:81
	v_mov_b32_e32 v15, v19
	v_accvgpr_read_b32 v17, a249
	ds_write_b64 v18, v[14:15] offset:1296
	v_mov_b32_e32 v14, v68
	v_mov_b32_e32 v15, v67
	v_add_u32_e32 v16, 0x1400, v17
	ds_write2_b64 v16, v[2:3], v[14:15] offset0:89 offset1:170
	v_pk_add_f32 v[2:3], v[4:5], v[54:55]
	v_mov_b32_e32 v67, v69
	v_pk_add_f32 v[2:3], v[2:3], v[56:57]
	v_mov_b32_e32 v4, v60
	v_mov_b32_e32 v5, v59
	v_accvgpr_read_b32 v14, a254
	ds_write_b64 v17, v[66:67] offset:7128
	ds_write2_b64 v14, v[2:3], v[4:5] offset1:81
	v_pk_add_f32 v[2:3], v[10:11], v[46:47]
	v_mov_b32_e32 v59, v61
	v_pk_add_f32 v[2:3], v[2:3], v[48:49]
	v_mov_b32_e32 v4, v52
	v_mov_b32_e32 v5, v51
	v_accvgpr_read_b32 v10, a255
	ds_write_b64 v14, v[58:59] offset:1296
	ds_write2_b64 v10, v[2:3], v[4:5] offset1:81
	v_pk_add_f32 v[2:3], v[34:35], v[36:37]
	v_mov_b32_e32 v51, v53
	v_pk_fma_f32 v[4:5], v[2:3], 0.5, v[12:13] op_sel_hi:[1,0,1] neg_lo:[1,0,0] neg_hi:[1,0,0]
	v_pk_add_f32 v[2:3], v[34:35], v[36:37] neg_lo:[0,1] neg_hi:[0,1]
	ds_write_b64 v10, v[50:51] offset:1296
	v_pk_mul_f32 v[12:13], v[2:3], s[2:3] op_sel_hi:[1,0]
	v_mov_b32_e32 v14, v41
	v_pk_add_f32 v[2:3], v[4:5], v[12:13] op_sel:[0,1] op_sel_hi:[1,0] neg_lo:[0,1] neg_hi:[0,1]
	v_pk_add_f32 v[10:11], v[4:5], v[12:13] op_sel:[0,1] op_sel_hi:[1,0]
	v_mov_b32_e32 v15, v13
	v_mov_b32_e32 v16, v38
	;; [unrolled: 1-line block ×5, first 2 shown]
	v_pk_add_f32 v[52:53], v[14:15], v[16:17]
	v_pk_add_f32 v[4:5], v[4:5], v[40:41] neg_lo:[0,1] neg_hi:[0,1]
	v_mov_b32_e32 v3, v11
	v_accvgpr_read_b32 v10, a71
	v_mov_b32_e32 v12, v53
	v_mov_b32_e32 v13, v5
	ds_write2_b64 v10, v[0:1], v[2:3] offset1:81
	ds_write_b64 v10, v[12:13] offset:1296
	v_accvgpr_read_b32 v10, a70
	v_add_u32_e32 v3, 0x2c00, v10
	v_mov_b32_e32 v12, v52
	v_mov_b32_e32 v13, v4
	ds_write2_b64 v3, v[6:7], v[8:9] offset0:50 offset1:131
	ds_write_b64 v10, v[12:13] offset:12960
	s_waitcnt lgkmcnt(0)
	; wave barrier
	s_waitcnt lgkmcnt(0)
	ds_read2_b64 v[28:31], v228 offset1:63
	ds_read2_b64 v[12:15], v228 offset0:126 offset1:243
	ds_read2_b64 v[32:35], v205 offset0:102 offset1:165
	;; [unrolled: 1-line block ×9, first 2 shown]
	ds_read_b64 v[54:55], v228 offset:12672
	s_and_saveexec_b64 s[2:3], s[0:1]
	s_xor_b64 s[0:1], exec, s[2:3]
	s_andn2_saveexec_b64 s[0:1], s[0:1]
	s_cbranch_execz .LBB0_9
; %bb.8:
	v_add_u32_e32 v0, 0x1500, v228
	v_add_u32_e32 v1, 0x2400, v228
	ds_read2_b64 v[8:11], v1 offset0:9 offset1:252
	ds_read2_b64 v[4:7], v0 offset0:3 offset1:246
	v_add_u32_e32 v0, 0x5c0, v228
	ds_read2_b64 v[0:3], v0 offset0:5 offset1:248
	ds_read_b64 a[138:139], v228 offset:13176
	s_waitcnt lgkmcnt(3)
	v_mov_b32_e32 v52, v10
	s_waitcnt lgkmcnt(2)
	v_mov_b32_e32 v53, v4
	v_mov_b32_e32 v4, v11
	s_waitcnt lgkmcnt(1)
	v_mov_b32_e32 v11, v3
.LBB0_9:
	s_or_b64 exec, exec, s[0:1]
	s_waitcnt lgkmcnt(9)
	v_pk_mul_f32 v[70:71], v[184:185], v[14:15] op_sel_hi:[1,0]
	v_mov_b32_e32 v72, v15
	s_waitcnt lgkmcnt(8)
	v_pk_mul_f32 v[74:75], v[186:187], v[32:33] op_sel_hi:[1,0]
	v_mov_b32_e32 v76, v33
	v_mov_b32_e32 v10, v189
	s_waitcnt lgkmcnt(7)
	v_pk_mul_f32 v[56:57], v[188:189], v[18:19] op_sel:[0,1] op_sel_hi:[1,0]
	v_pk_fma_f32 v[72:73], v[184:185], v[72:73], v[70:71] op_sel:[0,0,1] op_sel_hi:[1,1,0] neg_lo:[0,0,1] neg_hi:[0,0,1]
	v_pk_fma_f32 v[14:15], v[184:185], v[14:15], v[70:71] op_sel:[0,1,1] op_sel_hi:[1,1,0]
	v_pk_mul_f32 v[80:81], v[10:11], v[18:19] op_sel:[0,1] op_sel_hi:[1,0]
	v_mov_b32_e32 v10, v57
	s_waitcnt lgkmcnt(5)
	v_pk_mul_f32 v[90:91], v[144:145], v[42:43] op_sel_hi:[1,0]
	v_mov_b32_e32 v92, v43
	v_mov_b32_e32 v73, v15
	v_pk_fma_f32 v[14:15], v[186:187], v[76:77], v[74:75] op_sel:[0,0,1] op_sel_hi:[1,1,0] neg_lo:[0,0,1] neg_hi:[0,0,1]
	v_pk_fma_f32 v[32:33], v[186:187], v[32:33], v[74:75] op_sel:[0,1,1] op_sel_hi:[1,1,0]
	v_pk_fma_f32 v[82:83], v[188:189], v[18:19], v[10:11] op_sel:[0,1,0] op_sel_hi:[1,0,1] neg_lo:[0,0,1] neg_hi:[0,0,1]
	v_mov_b32_e32 v10, v191
	s_waitcnt lgkmcnt(4)
	v_pk_mul_f32 v[94:95], v[146:147], v[36:37] op_sel_hi:[1,0]
	v_mov_b32_e32 v96, v37
	v_mov_b32_e32 v15, v33
	v_pk_fma_f32 v[32:33], v[144:145], v[92:93], v[90:91] op_sel:[0,0,1] op_sel_hi:[1,1,0] neg_lo:[0,0,1] neg_hi:[0,0,1]
	v_pk_fma_f32 v[42:43], v[144:145], v[42:43], v[90:91] op_sel:[0,1,1] op_sel_hi:[1,1,0]
	v_pk_mul_f32 v[78:79], v[188:189], v[18:19]
	v_pk_mul_f32 v[84:85], v[190:191], v[48:49]
	v_pk_mul_f32 v[86:87], v[10:11], v[48:49] op_sel:[0,1] op_sel_hi:[1,0]
	v_pk_mul_f32 v[18:19], v[190:191], v[48:49] op_sel:[0,1] op_sel_hi:[1,0]
	v_mov_b32_e32 v33, v43
	v_pk_fma_f32 v[42:43], v[146:147], v[96:97], v[94:95] op_sel:[0,0,1] op_sel_hi:[1,1,0] neg_lo:[0,0,1] neg_hi:[0,0,1]
	v_pk_fma_f32 v[36:37], v[146:147], v[36:37], v[94:95] op_sel:[0,1,1] op_sel_hi:[1,1,0]
	v_mov_b32_e32 v10, v19
	v_mov_b32_e32 v43, v37
	;; [unrolled: 1-line block ×6, first 2 shown]
	v_pk_fma_f32 v[88:89], v[190:191], v[48:49], v[10:11] op_sel:[0,1,0] op_sel_hi:[1,0,1] neg_lo:[0,0,1] neg_hi:[0,0,1]
	v_pk_add_f32 v[36:37], v[72:73], v[42:43]
	v_pk_add_f32 v[70:71], v[72:73], v[42:43] neg_lo:[0,1] neg_hi:[0,1]
	v_pk_add_f32 v[74:75], v[14:15], v[32:33]
	v_pk_add_f32 v[76:77], v[14:15], v[32:33] neg_lo:[0,1] neg_hi:[0,1]
	v_pk_add_f32 v[42:43], v[84:85], v[86:87]
	v_pk_add_f32 v[14:15], v[78:79], v[80:81]
	v_mov_b32_e32 v89, v42
	v_mov_b32_e32 v83, v14
	v_pk_add_f32 v[32:33], v[88:89], v[82:83] neg_lo:[0,1] neg_hi:[0,1]
	v_mov_b32_e32 v84, v75
	v_mov_b32_e32 v85, v82
	;; [unrolled: 1-line block ×8, first 2 shown]
	s_mov_b32 s2, 0x3f08b237
	v_pk_add_f32 v[82:83], v[84:85], v[82:83]
	v_pk_add_f32 v[84:85], v[14:15], v[42:43]
	s_mov_b32 s16, 0x3d64c772
	v_pk_add_f32 v[72:73], v[72:73], v[78:79] neg_lo:[0,1] neg_hi:[0,1]
	s_mov_b32 s3, 0xbeae86e6
	v_mov_b32_e32 v78, v70
	v_mov_b32_e32 v80, v32
	;; [unrolled: 1-line block ×9, first 2 shown]
	s_mov_b32 s17, 0x3f4a47b2
	v_pk_add_f32 v[78:79], v[78:79], v[80:81] neg_lo:[0,1] neg_hi:[0,1]
	s_mov_b32 s14, s3
	s_mov_b32 s15, s2
	v_pk_add_f32 v[86:87], v[42:43], v[86:87] neg_lo:[0,1] neg_hi:[0,1]
	v_pk_add_f32 v[88:89], v[88:89], v[14:15] neg_lo:[0,1] neg_hi:[0,1]
	s_mov_b32 s18, s17
	s_mov_b32 s19, s16
	v_pk_mul_f32 v[72:73], v[72:73], s[2:3]
	v_pk_mul_f32 v[80:81], v[78:79], s[14:15]
	v_pk_add_f32 v[32:33], v[32:33], v[76:77]
	v_pk_add_f32 v[82:83], v[82:83], v[84:85]
	v_pk_mul_f32 v[84:85], v[86:87], s[16:17]
	v_pk_mul_f32 v[86:87], v[88:89], s[18:19]
	v_mov_b32_e32 v14, v75
	v_mov_b32_e32 v42, v37
	v_pk_add_f32 v[32:33], v[32:33], v[70:71]
	v_pk_add_f32 v[28:29], v[28:29], v[82:83]
	s_mov_b32 s20, 0x3f955555
	v_pk_add_f32 v[70:71], v[76:77], v[70:71] neg_lo:[0,1] neg_hi:[0,1]
	s_mov_b32 s8, 0xbf5ff5aa
	v_pk_add_f32 v[14:15], v[14:15], v[42:43] neg_lo:[0,1] neg_hi:[0,1]
	s_mov_b32 s10, 0x3f3bfb3b
	v_mov_b32_e32 v36, v86
	v_mov_b32_e32 v37, v85
	;; [unrolled: 1-line block ×4, first 2 shown]
	s_mov_b32 s0, 0xbee1c552
	v_pk_fma_f32 v[82:83], v[82:83], s[20:21], v[28:29] op_sel_hi:[1,0,1] neg_lo:[1,0,0] neg_hi:[1,0,0]
	v_pk_fma_f32 v[36:37], v[14:15], s[10:11], v[36:37] op_sel_hi:[1,0,1] neg_lo:[1,0,1] neg_hi:[1,0,1]
	;; [unrolled: 1-line block ×3, first 2 shown]
	v_pk_add_f32 v[36:37], v[36:37], v[82:83]
	v_pk_fma_f32 v[42:43], v[32:33], s[0:1], v[42:43] op_sel_hi:[1,0,1]
	v_pk_fma_f32 v[88:89], v[88:89], s[18:19], v[84:85]
	v_pk_add_f32 v[74:75], v[36:37], v[42:43]
	v_pk_add_f32 v[36:37], v[36:37], v[42:43] neg_lo:[0,1] neg_hi:[0,1]
	v_pk_fma_f32 v[78:79], v[78:79], s[14:15], v[72:73]
	v_mov_b32_e32 v42, v74
	v_mov_b32_e32 v43, v37
	;; [unrolled: 1-line block ×4, first 2 shown]
	ds_write_b64 v228, v[42:43] offset:3888
	v_pk_fma_f32 v[14:15], v[14:15], s[10:11], v[84:85] op_sel_hi:[1,0,1] neg_lo:[0,0,1] neg_hi:[0,0,1]
	v_pk_fma_f32 v[42:43], v[70:71], s[8:9], v[72:73] op_sel_hi:[1,0,1] neg_lo:[0,0,1] neg_hi:[0,0,1]
	v_pk_fma_f32 v[78:79], v[32:33], s[0:1], v[78:79] op_sel_hi:[1,0,1]
	v_pk_add_f32 v[14:15], v[14:15], v[82:83]
	v_pk_fma_f32 v[32:33], v[32:33], s[0:1], v[42:43] op_sel_hi:[1,0,1]
	s_waitcnt lgkmcnt(4)
	v_pk_mul_f32 v[98:99], v[172:173], v[24:25] op_sel_hi:[1,0]
	v_pk_add_f32 v[42:43], v[14:15], v[32:33] neg_lo:[0,1] neg_hi:[0,1]
	v_pk_add_f32 v[14:15], v[14:15], v[32:33]
	v_mov_b32_e32 v100, v25
	v_mov_b32_e32 v33, v15
	;; [unrolled: 1-line block ×3, first 2 shown]
	v_pk_mul_f32 v[102:103], v[174:175], v[34:35] op_sel_hi:[1,0]
	v_mov_b32_e32 v104, v35
	v_mov_b32_e32 v10, v149
	s_waitcnt lgkmcnt(3)
	v_pk_mul_f32 v[18:19], v[148:149], v[44:45] op_sel:[0,1] op_sel_hi:[1,0]
	v_mov_b32_e32 v32, v42
	ds_write_b64 v228, v[14:15] offset:7776
	v_pk_fma_f32 v[14:15], v[172:173], v[100:101], v[98:99] op_sel:[0,0,1] op_sel_hi:[1,1,0] neg_lo:[0,0,1] neg_hi:[0,0,1]
	v_pk_fma_f32 v[24:25], v[172:173], v[24:25], v[98:99] op_sel:[0,1,1] op_sel_hi:[1,1,0]
	v_pk_mul_f32 v[108:109], v[10:11], v[44:45] op_sel:[0,1] op_sel_hi:[1,0]
	v_mov_b32_e32 v10, v19
	s_waitcnt lgkmcnt(3)
	v_pk_mul_f32 v[118:119], v[168:169], v[20:21] op_sel_hi:[1,0]
	v_mov_b32_e32 v120, v21
	ds_write_b64 v228, v[32:33] offset:5832
	v_mov_b32_e32 v15, v25
	v_pk_fma_f32 v[24:25], v[174:175], v[104:105], v[102:103] op_sel:[0,0,1] op_sel_hi:[1,1,0] neg_lo:[0,0,1] neg_hi:[0,0,1]
	v_pk_fma_f32 v[32:33], v[174:175], v[34:35], v[102:103] op_sel:[0,1,1] op_sel_hi:[1,1,0]
	v_pk_fma_f32 v[110:111], v[148:149], v[44:45], v[10:11] op_sel:[0,1,0] op_sel_hi:[1,0,1] neg_lo:[0,0,1] neg_hi:[0,0,1]
	v_mov_b32_e32 v10, v151
	v_pk_mul_f32 v[122:123], v[170:171], v[38:39] op_sel_hi:[1,0]
	v_mov_b32_e32 v124, v39
	v_mov_b32_e32 v25, v33
	v_pk_fma_f32 v[32:33], v[168:169], v[120:121], v[118:119] op_sel:[0,0,1] op_sel_hi:[1,1,0] neg_lo:[0,0,1] neg_hi:[0,0,1]
	v_pk_fma_f32 v[20:21], v[168:169], v[20:21], v[118:119] op_sel:[0,1,1] op_sel_hi:[1,1,0]
	v_pk_mul_f32 v[106:107], v[148:149], v[44:45]
	v_pk_mul_f32 v[112:113], v[150:151], v[50:51]
	v_pk_mul_f32 v[114:115], v[10:11], v[50:51] op_sel:[0,1] op_sel_hi:[1,0]
	v_pk_mul_f32 v[18:19], v[150:151], v[50:51] op_sel:[0,1] op_sel_hi:[1,0]
	v_mov_b32_e32 v33, v21
	v_pk_fma_f32 v[20:21], v[170:171], v[124:125], v[122:123] op_sel:[0,0,1] op_sel_hi:[1,1,0] neg_lo:[0,0,1] neg_hi:[0,0,1]
	v_pk_fma_f32 v[34:35], v[170:171], v[38:39], v[122:123] op_sel:[0,1,1] op_sel_hi:[1,1,0]
	v_mov_b32_e32 v10, v19
	v_mov_b32_e32 v37, v75
	;; [unrolled: 1-line block ×7, first 2 shown]
	v_pk_fma_f32 v[116:117], v[150:151], v[50:51], v[10:11] op_sel:[0,1,0] op_sel_hi:[1,0,1] neg_lo:[0,0,1] neg_hi:[0,0,1]
	ds_write_b64 v228, v[36:37] offset:9720
	v_pk_add_f32 v[34:35], v[14:15], v[20:21]
	v_pk_add_f32 v[36:37], v[14:15], v[20:21] neg_lo:[0,1] neg_hi:[0,1]
	v_pk_add_f32 v[14:15], v[112:113], v[114:115]
	v_pk_add_f32 v[20:21], v[106:107], v[108:109]
	;; [unrolled: 1-line block ×4, first 2 shown]
	v_mov_b32_e32 v117, v14
	v_mov_b32_e32 v111, v20
	v_pk_add_f32 v[90:91], v[88:89], v[78:79]
	v_pk_add_f32 v[78:79], v[88:89], v[78:79] neg_lo:[0,1] neg_hi:[0,1]
	v_pk_add_f32 v[42:43], v[24:25], v[32:33] neg_lo:[0,1] neg_hi:[0,1]
	;; [unrolled: 1-line block ×3, first 2 shown]
	v_mov_b32_e32 v74, v39
	v_mov_b32_e32 v75, v110
	;; [unrolled: 1-line block ×10, first 2 shown]
	v_pk_add_f32 v[74:75], v[74:75], v[76:77]
	v_pk_add_f32 v[76:77], v[20:21], v[14:15]
	ds_write_b64 v228, v[78:79] offset:11664
	v_pk_add_f32 v[32:33], v[32:33], v[70:71] neg_lo:[0,1] neg_hi:[0,1]
	v_mov_b32_e32 v70, v36
	v_mov_b32_e32 v72, v24
	v_mov_b32_e32 v73, v43
	v_mov_b32_e32 v14, v76
	v_mov_b32_e32 v78, v39
	v_mov_b32_e32 v79, v75
	v_mov_b32_e32 v80, v35
	v_mov_b32_e32 v81, v75
	v_mov_b32_e32 v20, v76
	v_pk_add_f32 v[70:71], v[70:71], v[72:73] neg_lo:[0,1] neg_hi:[0,1]
	v_pk_add_f32 v[78:79], v[14:15], v[78:79] neg_lo:[0,1] neg_hi:[0,1]
	;; [unrolled: 1-line block ×3, first 2 shown]
	v_pk_add_f32 v[74:75], v[74:75], v[76:77]
	v_mov_b32_e32 v88, v90
	v_pk_mul_f32 v[32:33], v[32:33], s[2:3]
	v_pk_mul_f32 v[72:73], v[70:71], s[14:15]
	v_pk_add_f32 v[30:31], v[30:31], v[74:75]
	v_pk_mul_f32 v[76:77], v[78:79], s[16:17]
	v_pk_mul_f32 v[78:79], v[80:81], s[18:19]
	v_mov_b32_e32 v20, v39
	v_mov_b32_e32 v14, v35
	ds_write_b64 v228, v[88:89] offset:1944
	v_pk_add_f32 v[24:25], v[24:25], v[42:43]
	v_pk_fma_f32 v[74:75], v[74:75], s[20:21], v[30:31] op_sel_hi:[1,0,1] neg_lo:[1,0,0] neg_hi:[1,0,0]
	v_pk_fma_f32 v[80:81], v[80:81], s[18:19], v[76:77]
	v_pk_fma_f32 v[70:71], v[70:71], s[14:15], v[32:33]
	ds_write2_b64 v228, v[28:29], v[30:31] offset1:63
	v_pk_add_f32 v[30:31], v[42:43], v[36:37] neg_lo:[0,1] neg_hi:[0,1]
	v_pk_add_f32 v[14:15], v[20:21], v[14:15] neg_lo:[0,1] neg_hi:[0,1]
	v_mov_b32_e32 v20, v78
	v_mov_b32_e32 v21, v77
	;; [unrolled: 1-line block ×6, first 2 shown]
	v_pk_add_f32 v[24:25], v[24:25], v[36:37]
	v_pk_fma_f32 v[20:21], v[14:15], s[10:11], v[20:21] op_sel_hi:[1,0,1] neg_lo:[1,0,1] neg_hi:[1,0,1]
	v_pk_fma_f32 v[34:35], v[30:31], s[8:9], v[34:35] op_sel_hi:[1,0,1] neg_lo:[1,0,1] neg_hi:[1,0,1]
	;; [unrolled: 1-line block ×4, first 2 shown]
	v_pk_fma_f32 v[70:71], v[24:25], s[0:1], v[70:71] op_sel_hi:[1,0,1]
	v_pk_add_f32 v[20:21], v[20:21], v[74:75]
	v_pk_fma_f32 v[34:35], v[24:25], s[0:1], v[34:35] op_sel_hi:[1,0,1]
	v_pk_add_f32 v[14:15], v[14:15], v[74:75]
	;; [unrolled: 2-line block ×3, first 2 shown]
	v_pk_add_f32 v[20:21], v[20:21], v[34:35] neg_lo:[0,1] neg_hi:[0,1]
	v_pk_add_f32 v[30:31], v[14:15], v[24:25] neg_lo:[0,1] neg_hi:[0,1]
	v_pk_add_f32 v[14:15], v[14:15], v[24:25]
	v_pk_mul_f32 v[58:59], v[156:157], v[26:27] op_sel_hi:[1,0]
	v_mov_b32_e32 v60, v27
	v_mov_b32_e32 v18, v181
	;; [unrolled: 1-line block ×6, first 2 shown]
	v_pk_mul_f32 v[56:57], v[158:159], v[16:17] op_sel_hi:[1,0]
	v_mov_b32_e32 v10, v17
	v_pk_mul_f32 v[48:49], v[18:19], v[46:47] op_sel:[0,1] op_sel_hi:[1,0]
	v_pk_mul_f32 v[18:19], v[180:181], v[46:47] op_sel:[0,1] op_sel_hi:[1,0]
	;; [unrolled: 1-line block ×3, first 2 shown]
	ds_write_b64 v228, v[14:15] offset:8280
	ds_write_b64 v228, v[20:21] offset:10224
	v_pk_fma_f32 v[14:15], v[156:157], v[60:61], v[58:59] op_sel:[0,0,1] op_sel_hi:[1,1,0] neg_lo:[0,0,1] neg_hi:[0,0,1]
	v_pk_fma_f32 v[20:21], v[156:157], v[26:27], v[58:59] op_sel:[0,1,1] op_sel_hi:[1,1,0]
	v_mov_b32_e32 v18, v19
	v_mov_b32_e32 v50, v183
	;; [unrolled: 1-line block ×3, first 2 shown]
	v_pk_mul_f32 v[64:65], v[176:177], v[22:23] op_sel_hi:[1,0]
	v_mov_b32_e32 v68, v23
	v_mov_b32_e32 v15, v21
	v_pk_fma_f32 v[20:21], v[158:159], v[10:11], v[56:57] op_sel:[0,0,1] op_sel_hi:[1,1,0] neg_lo:[0,0,1] neg_hi:[0,0,1]
	v_pk_fma_f32 v[16:17], v[158:159], v[16:17], v[56:57] op_sel:[0,1,1] op_sel_hi:[1,1,0]
	v_pk_mul_f32 v[44:45], v[180:181], v[46:47]
	v_pk_fma_f32 v[18:19], v[180:181], v[46:47], v[18:19] op_sel:[0,1,0] op_sel_hi:[1,0,1] neg_lo:[0,0,1] neg_hi:[0,0,1]
	v_pk_mul_f32 v[46:47], v[182:183], v[40:41]
	v_pk_mul_f32 v[50:51], v[50:51], v[40:41] op_sel:[0,1] op_sel_hi:[1,0]
	v_pk_fma_f32 v[40:41], v[182:183], v[40:41], v[62:63] op_sel:[0,1,0] op_sel_hi:[1,0,1] neg_lo:[0,0,1] neg_hi:[0,0,1]
	s_waitcnt lgkmcnt(9)
	v_pk_mul_f32 v[62:63], v[178:179], v[54:55] op_sel_hi:[1,0]
	v_mov_b32_e32 v66, v55
	v_mov_b32_e32 v24, v30
	;; [unrolled: 1-line block ×3, first 2 shown]
	v_pk_fma_f32 v[16:17], v[176:177], v[68:69], v[64:65] op_sel:[0,0,1] op_sel_hi:[1,1,0] neg_lo:[0,0,1] neg_hi:[0,0,1]
	v_pk_fma_f32 v[22:23], v[176:177], v[22:23], v[64:65] op_sel:[0,1,1] op_sel_hi:[1,1,0]
	ds_write_b64 v228, v[24:25] offset:6336
	v_mov_b32_e32 v17, v23
	v_pk_fma_f32 v[22:23], v[178:179], v[66:67], v[62:63] op_sel:[0,0,1] op_sel_hi:[1,1,0] neg_lo:[0,0,1] neg_hi:[0,0,1]
	v_pk_fma_f32 v[24:25], v[178:179], v[54:55], v[62:63] op_sel:[0,1,1] op_sel_hi:[1,1,0]
	v_mov_b32_e32 v47, v14
	v_mov_b32_e32 v23, v25
	;; [unrolled: 1-line block ×5, first 2 shown]
	v_pk_add_f32 v[24:25], v[14:15], v[22:23]
	v_pk_add_f32 v[26:27], v[14:15], v[22:23] neg_lo:[0,1] neg_hi:[0,1]
	v_pk_add_f32 v[30:31], v[20:21], v[16:17]
	v_pk_add_f32 v[32:33], v[20:21], v[16:17] neg_lo:[0,1] neg_hi:[0,1]
	v_pk_add_f32 v[14:15], v[46:47], v[50:51]
	v_pk_add_f32 v[16:17], v[44:45], v[48:49]
	v_mov_b32_e32 v41, v14
	v_mov_b32_e32 v19, v16
	v_pk_add_f32 v[20:21], v[40:41], v[18:19] neg_lo:[0,1] neg_hi:[0,1]
	v_mov_b32_e32 v38, v31
	v_mov_b32_e32 v39, v18
	;; [unrolled: 1-line block ×5, first 2 shown]
	v_pk_add_f32 v[18:19], v[38:39], v[18:19]
	v_pk_add_f32 v[38:39], v[16:17], v[14:15]
	ds_write_b64 v228, v[34:35] offset:4392
	v_mov_b32_e32 v22, v20
	v_mov_b32_e32 v23, v27
	v_mov_b32_e32 v34, v32
	v_mov_b32_e32 v35, v21
	v_mov_b32_e32 v14, v38
	v_mov_b32_e32 v40, v31
	v_mov_b32_e32 v41, v19
	v_pk_add_f32 v[22:23], v[22:23], v[34:35] neg_lo:[0,1] neg_hi:[0,1]
	v_mov_b32_e32 v34, v26
	v_mov_b32_e32 v36, v20
	;; [unrolled: 1-line block ×3, first 2 shown]
	v_pk_add_f32 v[40:41], v[14:15], v[40:41] neg_lo:[0,1] neg_hi:[0,1]
	v_mov_b32_e32 v42, v25
	v_mov_b32_e32 v43, v19
	;; [unrolled: 1-line block ×3, first 2 shown]
	v_pk_add_f32 v[18:19], v[18:19], v[38:39]
	v_pk_mul_f32 v[22:23], v[22:23], s[2:3]
	v_pk_add_f32 v[34:35], v[34:35], v[36:37] neg_lo:[0,1] neg_hi:[0,1]
	v_pk_add_f32 v[20:21], v[20:21], v[32:33]
	v_pk_add_f32 v[42:43], v[42:43], v[16:17] neg_lo:[0,1] neg_hi:[0,1]
	v_pk_add_f32 v[12:13], v[12:13], v[18:19]
	v_pk_mul_f32 v[38:39], v[40:41], s[16:17]
	v_pk_mul_f32 v[36:37], v[34:35], s[14:15]
	v_pk_add_f32 v[20:21], v[20:21], v[26:27]
	v_pk_mul_f32 v[40:41], v[42:43], s[18:19]
	v_pk_fma_f32 v[18:19], v[18:19], s[20:21], v[12:13] op_sel_hi:[1,0,1] neg_lo:[1,0,0] neg_hi:[1,0,0]
	v_pk_fma_f32 v[42:43], v[42:43], s[18:19], v[38:39]
	v_pk_fma_f32 v[34:35], v[34:35], s[14:15], v[22:23]
	v_pk_add_f32 v[80:81], v[80:81], v[74:75]
	v_pk_add_f32 v[42:43], v[42:43], v[18:19]
	v_pk_fma_f32 v[34:35], v[20:21], s[0:1], v[34:35] op_sel_hi:[1,0,1]
	v_pk_add_f32 v[82:83], v[80:81], v[70:71]
	v_pk_add_f32 v[70:71], v[80:81], v[70:71] neg_lo:[0,1] neg_hi:[0,1]
	v_pk_add_f32 v[44:45], v[42:43], v[34:35]
	v_pk_add_f32 v[34:35], v[42:43], v[34:35] neg_lo:[0,1] neg_hi:[0,1]
	v_mov_b32_e32 v28, v82
	v_mov_b32_e32 v29, v71
	v_mov_b32_e32 v71, v83
	ds_write_b64 v228, v[12:13] offset:1008
	v_mov_b32_e32 v12, v44
	v_mov_b32_e32 v13, v35
	v_add_u32_e32 v10, 0x800, v228
	v_mov_b32_e32 v16, v31
	v_mov_b32_e32 v14, v25
	ds_write_b64 v228, v[70:71] offset:12168
	ds_write2_b64 v10, v[28:29], v[12:13] offset0:50 offset1:113
	v_pk_add_f32 v[12:13], v[32:33], v[26:27] neg_lo:[0,1] neg_hi:[0,1]
	v_pk_add_f32 v[14:15], v[16:17], v[14:15] neg_lo:[0,1] neg_hi:[0,1]
	v_mov_b32_e32 v16, v40
	v_mov_b32_e32 v17, v39
	;; [unrolled: 1-line block ×6, first 2 shown]
	v_pk_fma_f32 v[16:17], v[14:15], s[10:11], v[16:17] op_sel_hi:[1,0,1] neg_lo:[1,0,1] neg_hi:[1,0,1]
	v_pk_fma_f32 v[24:25], v[12:13], s[8:9], v[24:25] op_sel_hi:[1,0,1] neg_lo:[1,0,1] neg_hi:[1,0,1]
	;; [unrolled: 1-line block ×4, first 2 shown]
	v_pk_add_f32 v[16:17], v[16:17], v[18:19]
	v_pk_fma_f32 v[24:25], v[20:21], s[0:1], v[24:25] op_sel_hi:[1,0,1]
	v_pk_add_f32 v[14:15], v[14:15], v[18:19]
	v_pk_fma_f32 v[12:13], v[20:21], s[0:1], v[12:13] op_sel_hi:[1,0,1]
	v_pk_add_f32 v[26:27], v[16:17], v[24:25]
	v_pk_add_f32 v[16:17], v[16:17], v[24:25] neg_lo:[0,1] neg_hi:[0,1]
	v_pk_add_f32 v[18:19], v[14:15], v[12:13] neg_lo:[0,1] neg_hi:[0,1]
	v_pk_add_f32 v[12:13], v[14:15], v[12:13]
	v_mov_b32_e32 v24, v26
	v_mov_b32_e32 v25, v17
	;; [unrolled: 1-line block ×7, first 2 shown]
	ds_write_b64 v228, v[24:25] offset:4896
	ds_write_b64 v228, v[14:15] offset:6840
	;; [unrolled: 1-line block ×5, first 2 shown]
	s_and_saveexec_b64 s[20:21], vcc
	s_cbranch_execz .LBB0_11
; %bb.10:
	v_accvgpr_read_b32 v26, a136
	v_accvgpr_read_b32 v27, a137
	v_mov_b32_e32 v14, v27
	v_mov_b32_e32 v15, v26
	v_pk_mul_f32 v[34:35], v[14:15], v[6:7]
	v_pk_mul_f32 v[2:3], v[152:153], v[2:3] op_sel_hi:[1,0]
	v_mov_b32_e32 v16, v11
	v_mov_b32_e32 v18, v11
	v_accvgpr_read_b32 v22, a138
	v_mov_b32_e32 v28, v7
	v_mov_b32_e32 v34, v35
	v_accvgpr_read_b32 v23, a139
	v_pk_mul_f32 v[26:27], v[26:27], v[6:7]
	v_pk_mul_f32 v[28:29], v[14:15], v[28:29]
	v_pk_mul_f32 v[32:33], v[160:161], v[52:53] op_sel_hi:[1,0]
	v_pk_fma_f32 v[6:7], v[14:15], v[6:7], v[34:35] neg_lo:[1,0,0] neg_hi:[1,0,0]
	v_pk_mul_f32 v[14:15], v[194:195], v[8:9]
	v_pk_fma_f32 v[16:17], v[152:153], v[16:17], v[2:3] op_sel:[0,0,1] op_sel_hi:[1,1,0] neg_lo:[0,0,1] neg_hi:[0,0,1]
	v_pk_fma_f32 v[2:3], v[152:153], v[18:19], v[2:3] op_sel:[0,0,1] op_sel_hi:[1,0,0]
	v_mov_b32_e32 v12, v195
	v_mov_b32_e32 v13, v194
	v_pk_mul_f32 v[20:21], v[162:163], v[22:23] op_sel_hi:[1,0]
	v_mov_b32_e32 v22, v23
	v_mov_b32_e32 v24, v9
	v_pk_mul_f32 v[30:31], v[154:155], v[52:53] op_sel:[0,1]
	v_mov_b32_e32 v14, v15
	v_mov_b32_e32 v17, v3
	v_pk_fma_f32 v[2:3], v[160:161], v[4:5], v[32:33] op_sel:[0,0,1] op_sel_hi:[1,1,0] neg_lo:[0,0,1] neg_hi:[0,0,1]
	v_pk_fma_f32 v[18:19], v[160:161], v[4:5], v[32:33] op_sel:[0,0,1] op_sel_hi:[1,0,0]
	v_pk_mul_f32 v[12:13], v[12:13], v[8:9]
	v_pk_mul_f32 v[24:25], v[194:195], v[24:25]
	v_pk_fma_f32 v[8:9], v[194:195], v[8:9], v[14:15] neg_lo:[1,0,0] neg_hi:[1,0,0]
	v_pk_fma_f32 v[14:15], v[162:163], v[22:23], v[20:21] op_sel:[0,0,1] op_sel_hi:[1,0,0] neg_lo:[0,0,1] neg_hi:[0,0,1]
	v_mov_b32_e32 v3, v19
	v_pk_fma_f32 v[18:19], v[154:155], v[4:5], v[30:31] op_sel:[0,1,1] op_sel_hi:[1,1,0] neg_lo:[0,0,1] neg_hi:[0,0,1]
	v_pk_fma_f32 v[4:5], v[154:155], v[4:5], v[30:31] op_sel:[0,1,1] op_sel_hi:[1,1,0]
	v_pk_fma_f32 v[20:21], v[162:163], v[22:23], v[20:21] op_sel:[0,0,1] op_sel_hi:[1,0,0]
	v_mov_b32_e32 v19, v5
	v_mov_b32_e32 v13, v14
	;; [unrolled: 1-line block ×6, first 2 shown]
	v_pk_add_f32 v[20:21], v[2:3], v[18:19]
	v_pk_add_f32 v[30:31], v[18:19], v[2:3] neg_lo:[0,1] neg_hi:[0,1]
	v_pk_add_f32 v[12:13], v[12:13], v[24:25]
	v_pk_add_f32 v[2:3], v[26:27], v[28:29]
	v_mov_b32_e32 v9, v12
	v_mov_b32_e32 v7, v2
	v_pk_add_f32 v[4:5], v[14:15], v[16:17]
	v_pk_add_f32 v[22:23], v[16:17], v[14:15] neg_lo:[0,1] neg_hi:[0,1]
	v_pk_add_f32 v[14:15], v[8:9], v[6:7] neg_lo:[0,1] neg_hi:[0,1]
	v_mov_b32_e32 v27, v23
	v_mov_b32_e32 v18, v14
	v_pk_add_f32 v[24:25], v[14:15], v[30:31]
	v_mov_b32_e32 v26, v14
	v_mov_b32_e32 v14, v30
	;; [unrolled: 1-line block ×3, first 2 shown]
	v_pk_add_f32 v[14:15], v[26:27], v[14:15] neg_lo:[0,1] neg_hi:[0,1]
	v_mov_b32_e32 v26, v21
	v_mov_b32_e32 v27, v6
	;; [unrolled: 1-line block ×4, first 2 shown]
	v_pk_add_f32 v[6:7], v[26:27], v[6:7]
	v_pk_add_f32 v[8:9], v[2:3], v[12:13]
	v_mov_b32_e32 v16, v22
	v_pk_add_f32 v[26:27], v[6:7], v[8:9]
	v_mov_b32_e32 v6, v5
	v_mov_b32_e32 v9, v3
	v_pk_add_f32 v[28:29], v[6:7], v[8:9] neg_lo:[0,1] neg_hi:[0,1]
	v_mov_b32_e32 v9, v13
	v_mov_b32_e32 v6, v21
	;; [unrolled: 1-line block ×3, first 2 shown]
	v_pk_add_f32 v[6:7], v[8:9], v[6:7] neg_lo:[0,1] neg_hi:[0,1]
	v_pk_add_f32 v[16:17], v[16:17], v[18:19] neg_lo:[0,1] neg_hi:[0,1]
	v_pk_mul_f32 v[14:15], v[14:15], s[2:3]
	v_pk_add_f32 v[0:1], v[0:1], v[26:27]
	v_pk_mul_f32 v[6:7], v[6:7], s[16:17]
	s_mov_b32 s2, 0xbf955555
	v_pk_mul_f32 v[18:19], v[16:17], s[14:15]
	v_pk_add_f32 v[24:25], v[24:25], v[22:23]
	v_pk_fma_f32 v[16:17], v[16:17], s[14:15], v[14:15]
	v_pk_fma_f32 v[8:9], v[28:29], s[18:19], v[6:7]
	v_pk_fma_f32 v[26:27], v[26:27], s[2:3], v[0:1] op_sel_hi:[1,0,1]
	v_pk_fma_f32 v[16:17], v[24:25], s[0:1], v[16:17] op_sel_hi:[1,0,1]
	v_pk_add_f32 v[8:9], v[8:9], v[26:27]
	v_pk_mul_f32 v[32:33], v[28:29], s[18:19]
	v_pk_add_f32 v[28:29], v[8:9], v[16:17]
	v_pk_add_f32 v[8:9], v[8:9], v[16:17] neg_lo:[0,1] neg_hi:[0,1]
	v_mov_b32_e32 v16, v28
	v_mov_b32_e32 v17, v9
	v_add_u32_e32 v2, 0x5c0, v228
	ds_write2_b64 v2, v[0:1], v[16:17] offset0:5 offset1:248
	v_mov_b32_e32 v2, v21
	v_mov_b32_e32 v12, v5
	v_pk_add_f32 v[0:1], v[30:31], v[22:23] neg_lo:[0,1] neg_hi:[0,1]
	v_mov_b32_e32 v16, v18
	v_mov_b32_e32 v17, v15
	v_pk_add_f32 v[2:3], v[2:3], v[12:13] neg_lo:[0,1] neg_hi:[0,1]
	v_mov_b32_e32 v4, v32
	v_mov_b32_e32 v5, v7
	;; [unrolled: 1-line block ×4, first 2 shown]
	v_pk_fma_f32 v[16:17], v[0:1], s[8:9], v[16:17] op_sel_hi:[1,0,1] neg_lo:[1,0,1] neg_hi:[1,0,1]
	v_pk_fma_f32 v[4:5], v[2:3], s[10:11], v[4:5] op_sel_hi:[1,0,1] neg_lo:[1,0,1] neg_hi:[1,0,1]
	v_pk_fma_f32 v[0:1], v[0:1], s[8:9], v[14:15] op_sel_hi:[1,0,1] neg_lo:[0,0,1] neg_hi:[0,0,1]
	v_pk_fma_f32 v[2:3], v[2:3], s[10:11], v[6:7] op_sel_hi:[1,0,1] neg_lo:[0,0,1] neg_hi:[0,0,1]
	v_pk_fma_f32 v[16:17], v[24:25], s[0:1], v[16:17] op_sel_hi:[1,0,1]
	v_pk_add_f32 v[4:5], v[4:5], v[26:27]
	v_pk_fma_f32 v[0:1], v[24:25], s[0:1], v[0:1] op_sel_hi:[1,0,1]
	v_pk_add_f32 v[2:3], v[2:3], v[26:27]
	v_pk_add_f32 v[12:13], v[4:5], v[16:17]
	v_pk_add_f32 v[4:5], v[4:5], v[16:17] neg_lo:[0,1] neg_hi:[0,1]
	v_pk_add_f32 v[6:7], v[2:3], v[0:1] neg_lo:[0,1] neg_hi:[0,1]
	v_pk_add_f32 v[0:1], v[2:3], v[0:1]
	v_mov_b32_e32 v16, v12
	v_mov_b32_e32 v17, v5
	;; [unrolled: 1-line block ×4, first 2 shown]
	v_add_u32_e32 v1, 0x1500, v228
	ds_write2_b64 v1, v[16:17], v[2:3] offset0:3 offset1:246
	v_mov_b32_e32 v1, v7
	v_mov_b32_e32 v5, v13
	v_add_u32_e32 v2, 0x2400, v228
	v_mov_b32_e32 v9, v29
	ds_write2_b64 v2, v[0:1], v[4:5] offset0:9 offset1:252
	ds_write_b64 v228, v[8:9] offset:13176
.LBB0_11:
	s_or_b64 exec, exec, s[20:21]
	s_waitcnt lgkmcnt(0)
	; wave barrier
	s_waitcnt lgkmcnt(0)
	ds_read2_b64 v[2:5], v228 offset1:63
	v_accvgpr_read_b32 v12, a18
	v_mad_u64_u32 v[8:9], s[0:1], s6, v12, 0
	v_mov_b32_e32 v0, v9
	v_accvgpr_read_b32 v14, a32
	v_mad_u64_u32 v[0:1], s[0:1], s7, v12, v[0:1]
	v_accvgpr_read_b32 v15, a33
	v_mov_b32_e32 v9, v0
	s_waitcnt lgkmcnt(0)
	v_mul_f32_e32 v0, v15, v3
	v_fmac_f32_e32 v0, v14, v2
	s_mov_b32 s0, 0x9c850ab
	v_cvt_f64_f32_e32 v[0:1], v0
	s_mov_b32 s1, 0x3f434393
	v_mul_f64 v[0:1], v[0:1], s[0:1]
	v_cvt_f32_f64_e32 v12, v[0:1]
	v_mul_f32_e32 v0, v15, v2
	v_fma_f32 v0, v14, v3, -v0
	v_cvt_f64_f32_e32 v[0:1], v0
	v_mul_f64 v[0:1], v[0:1], s[0:1]
	v_mad_u64_u32 v[14:15], s[2:3], s4, v252, 0
	v_cvt_f32_f64_e32 v13, v[0:1]
	v_mov_b32_e32 v0, v15
	v_mad_u64_u32 v[16:17], s[2:3], s5, v252, v[0:1]
	v_add_u32_e32 v0, 0xc00, v228
	ds_read2_b64 v[0:3], v0 offset0:120 offset1:183
	v_mov_b32_e32 v6, s12
	v_mov_b32_e32 v7, s13
	v_lshl_add_u64 v[6:7], v[8:9], 3, v[6:7]
	v_accvgpr_read_b32 v8, a28
	v_mov_b32_e32 v15, v16
	v_accvgpr_read_b32 v9, a29
	v_lshl_add_u64 v[14:15], v[14:15], 3, v[6:7]
	s_waitcnt lgkmcnt(0)
	v_mul_f32_e32 v6, v9, v3
	v_fmac_f32_e32 v6, v8, v2
	v_mul_f32_e32 v2, v9, v2
	v_fma_f32 v2, v8, v3, -v2
	v_cvt_f64_f32_e32 v[2:3], v2
	v_cvt_f64_f32_e32 v[6:7], v6
	v_mul_f64 v[2:3], v[2:3], s[0:1]
	global_store_dwordx2 v[14:15], v[12:13], off
	v_mul_f64 v[6:7], v[6:7], s[0:1]
	v_cvt_f32_f64_e32 v13, v[2:3]
	v_add_u32_e32 v3, 0x2000, v228
	v_cvt_f32_f64_e32 v12, v[6:7]
	ds_read2_b64 v[6:9], v3 offset0:110 offset1:173
	v_mov_b32_e32 v2, 0x11b8
	v_accvgpr_read_b32 v16, a24
	v_mad_u64_u32 v[14:15], s[2:3], s4, v2, v[14:15]
	v_accvgpr_read_b32 v17, a25
	s_mul_i32 s2, s5, 0x11b8
	s_waitcnt lgkmcnt(0)
	v_mul_f32_e32 v3, v17, v7
	v_add_u32_e32 v15, s2, v15
	v_fmac_f32_e32 v3, v16, v6
	global_store_dwordx2 v[14:15], v[12:13], off
	v_cvt_f64_f32_e32 v[12:13], v3
	v_mul_f32_e32 v3, v17, v6
	v_fma_f32 v3, v16, v7, -v3
	v_cvt_f64_f32_e32 v[6:7], v3
	v_mul_f64 v[12:13], v[12:13], s[0:1]
	v_mul_f64 v[6:7], v[6:7], s[0:1]
	v_cvt_f32_f64_e32 v12, v[12:13]
	v_cvt_f32_f64_e32 v13, v[6:7]
	v_mad_u64_u32 v[6:7], s[6:7], s4, v2, v[14:15]
	v_accvgpr_read_b32 v14, a26
	v_accvgpr_read_b32 v15, a27
	v_mul_f32_e32 v3, v15, v5
	v_add_u32_e32 v7, s2, v7
	v_fmac_f32_e32 v3, v14, v4
	global_store_dwordx2 v[6:7], v[12:13], off
	v_cvt_f64_f32_e32 v[12:13], v3
	v_mul_f32_e32 v3, v15, v4
	v_fma_f32 v3, v14, v5, -v3
	v_cvt_f64_f32_e32 v[4:5], v3
	v_mul_f64 v[12:13], v[12:13], s[0:1]
	v_mul_f64 v[4:5], v[4:5], s[0:1]
	v_cvt_f32_f64_e32 v12, v[12:13]
	v_cvt_f32_f64_e32 v13, v[4:5]
	v_mov_b32_e32 v3, 0xffffde88
	v_add_u32_e32 v4, 0x1000, v228
	v_mad_u64_u32 v[14:15], s[6:7], s4, v3, v[6:7]
	ds_read2_b64 v[4:7], v4 offset0:118 offset1:181
	v_accvgpr_read_b32 v16, a20
	v_accvgpr_read_b32 v17, a21
	s_mul_i32 s3, s5, 0xffffde88
	s_sub_i32 s3, s3, s4
	s_waitcnt lgkmcnt(0)
	v_mul_f32_e32 v11, v17, v5
	v_fmac_f32_e32 v11, v16, v4
	v_mul_f32_e32 v4, v17, v4
	v_add_u32_e32 v15, s3, v15
	v_fma_f32 v4, v16, v5, -v4
	global_store_dwordx2 v[14:15], v[12:13], off
	v_cvt_f64_f32_e32 v[12:13], v11
	v_cvt_f64_f32_e32 v[4:5], v4
	v_mul_f64 v[12:13], v[12:13], s[0:1]
	v_mul_f64 v[4:5], v[4:5], s[0:1]
	v_cvt_f32_f64_e32 v12, v[12:13]
	v_cvt_f32_f64_e32 v13, v[4:5]
	v_mad_u64_u32 v[4:5], s[6:7], s4, v2, v[14:15]
	v_accvgpr_read_b32 v14, a16
	v_accvgpr_read_b32 v15, a17
	v_mul_f32_e32 v11, v15, v9
	v_add_u32_e32 v5, s2, v5
	v_fmac_f32_e32 v11, v14, v8
	global_store_dwordx2 v[4:5], v[12:13], off
	v_cvt_f64_f32_e32 v[12:13], v11
	v_mul_f64 v[12:13], v[12:13], s[0:1]
	v_mul_f32_e32 v8, v15, v8
	v_cvt_f32_f64_e32 v16, v[12:13]
	v_fma_f32 v8, v14, v9, -v8
	ds_read2_b64 v[12:15], v228 offset0:126 offset1:189
	v_cvt_f64_f32_e32 v[8:9], v8
	v_mul_f64 v[8:9], v[8:9], s[0:1]
	v_mad_u64_u32 v[4:5], s[6:7], s4, v2, v[4:5]
	v_cvt_f32_f64_e32 v17, v[8:9]
	v_add_u32_e32 v5, s2, v5
	global_store_dwordx2 v[4:5], v[16:17], off
	v_accvgpr_read_b32 v17, a13
	v_accvgpr_read_b32 v16, a12
	s_waitcnt lgkmcnt(0)
	v_mul_f32_e32 v8, v17, v13
	v_fmac_f32_e32 v8, v16, v12
	v_cvt_f64_f32_e32 v[8:9], v8
	v_mul_f64 v[8:9], v[8:9], s[0:1]
	v_cvt_f32_f64_e32 v8, v[8:9]
	v_mul_f32_e32 v9, v17, v12
	v_fma_f32 v9, v16, v13, -v9
	v_cvt_f64_f32_e32 v[12:13], v9
	v_mul_f64 v[12:13], v[12:13], s[0:1]
	v_accvgpr_read_b32 v17, a11
	v_cvt_f32_f64_e32 v9, v[12:13]
	v_mad_u64_u32 v[12:13], s[6:7], s4, v3, v[4:5]
	v_accvgpr_read_b32 v16, a10
	v_mul_f32_e32 v4, v17, v7
	v_fmac_f32_e32 v4, v16, v6
	v_cvt_f64_f32_e32 v[4:5], v4
	v_add_u32_e32 v13, s3, v13
	v_mul_f64 v[4:5], v[4:5], s[0:1]
	global_store_dwordx2 v[12:13], v[8:9], off
	v_cvt_f32_f64_e32 v8, v[4:5]
	v_mul_f32_e32 v4, v17, v6
	v_fma_f32 v4, v16, v7, -v4
	v_cvt_f64_f32_e32 v[4:5], v4
	v_mul_f64 v[4:5], v[4:5], s[0:1]
	v_cvt_f32_f64_e32 v9, v[4:5]
	v_add_u32_e32 v4, 0x2400, v228
	ds_read2_b64 v[4:7], v4 offset0:108 offset1:171
	v_mad_u64_u32 v[12:13], s[6:7], s4, v2, v[12:13]
	v_add_u32_e32 v13, s2, v13
	v_accvgpr_read_b32 v17, a9
	global_store_dwordx2 v[12:13], v[8:9], off
	v_accvgpr_read_b32 v16, a8
	s_waitcnt lgkmcnt(0)
	v_mul_f32_e32 v8, v17, v5
	v_fmac_f32_e32 v8, v16, v4
	v_mul_f32_e32 v4, v17, v4
	v_fma_f32 v4, v16, v5, -v4
	v_cvt_f64_f32_e32 v[8:9], v8
	v_cvt_f64_f32_e32 v[4:5], v4
	v_mul_f64 v[8:9], v[8:9], s[0:1]
	v_mul_f64 v[4:5], v[4:5], s[0:1]
	v_cvt_f32_f64_e32 v8, v[8:9]
	v_cvt_f32_f64_e32 v9, v[4:5]
	v_mad_u64_u32 v[4:5], s[6:7], s4, v2, v[12:13]
	v_add_u32_e32 v5, s2, v5
	v_accvgpr_read_b32 v13, a7
	global_store_dwordx2 v[4:5], v[8:9], off
	v_accvgpr_read_b32 v12, a6
	v_mul_f32_e32 v8, v13, v15
	v_fmac_f32_e32 v8, v12, v14
	v_cvt_f64_f32_e32 v[8:9], v8
	v_mul_f64 v[8:9], v[8:9], s[0:1]
	v_cvt_f32_f64_e32 v8, v[8:9]
	v_mul_f32_e32 v9, v13, v14
	v_fma_f32 v9, v12, v15, -v9
	v_cvt_f64_f32_e32 v[12:13], v9
	v_mul_f64 v[12:13], v[12:13], s[0:1]
	v_add_u32_e32 v11, 0x1400, v228
	v_cvt_f32_f64_e32 v9, v[12:13]
	ds_read2_b64 v[12:15], v11 offset0:116 offset1:179
	v_mad_u64_u32 v[4:5], s[6:7], s4, v3, v[4:5]
	v_add_u32_e32 v5, s3, v5
	v_accvgpr_read_b32 v17, a5
	global_store_dwordx2 v[4:5], v[8:9], off
	v_accvgpr_read_b32 v16, a4
	s_waitcnt lgkmcnt(0)
	v_mul_f32_e32 v8, v17, v13
	v_fmac_f32_e32 v8, v16, v12
	v_cvt_f64_f32_e32 v[8:9], v8
	v_mul_f64 v[8:9], v[8:9], s[0:1]
	v_cvt_f32_f64_e32 v8, v[8:9]
	v_mul_f32_e32 v9, v17, v12
	v_fma_f32 v9, v16, v13, -v9
	v_cvt_f64_f32_e32 v[12:13], v9
	v_mul_f64 v[12:13], v[12:13], s[0:1]
	v_accvgpr_read_b32 v17, a3
	v_cvt_f32_f64_e32 v9, v[12:13]
	v_mad_u64_u32 v[12:13], s[6:7], s4, v2, v[4:5]
	v_accvgpr_read_b32 v16, a2
	v_mul_f32_e32 v4, v17, v7
	v_fmac_f32_e32 v4, v16, v6
	v_cvt_f64_f32_e32 v[4:5], v4
	v_add_u32_e32 v13, s2, v13
	v_mul_f64 v[4:5], v[4:5], s[0:1]
	global_store_dwordx2 v[12:13], v[8:9], off
	v_cvt_f32_f64_e32 v8, v[4:5]
	v_mul_f32_e32 v4, v17, v6
	v_fma_f32 v4, v16, v7, -v4
	v_cvt_f64_f32_e32 v[4:5], v4
	v_mul_f64 v[4:5], v[4:5], s[0:1]
	v_cvt_f32_f64_e32 v9, v[4:5]
	v_add_u32_e32 v4, 0x400, v228
	ds_read2_b64 v[4:7], v4 offset0:124 offset1:187
	v_mad_u64_u32 v[12:13], s[6:7], s4, v2, v[12:13]
	v_accvgpr_read_b32 v16, a54
	v_add_u32_e32 v13, s2, v13
	v_accvgpr_read_b32 v17, a55
	global_store_dwordx2 v[12:13], v[8:9], off
	s_waitcnt lgkmcnt(0)
	v_mul_f32_e32 v8, v17, v5
	v_fmac_f32_e32 v8, v16, v4
	v_mul_f32_e32 v4, v17, v4
	v_fma_f32 v4, v16, v5, -v4
	v_cvt_f64_f32_e32 v[8:9], v8
	v_cvt_f64_f32_e32 v[4:5], v4
	v_mul_f64 v[8:9], v[8:9], s[0:1]
	v_mul_f64 v[4:5], v[4:5], s[0:1]
	v_cvt_f32_f64_e32 v8, v[8:9]
	v_cvt_f32_f64_e32 v9, v[4:5]
	v_mad_u64_u32 v[4:5], s[6:7], s4, v3, v[12:13]
	v_accvgpr_read_b32 v12, a52
	v_add_u32_e32 v5, s3, v5
	v_accvgpr_read_b32 v13, a53
	global_store_dwordx2 v[4:5], v[8:9], off
	v_mul_f32_e32 v8, v13, v15
	v_fmac_f32_e32 v8, v12, v14
	v_cvt_f64_f32_e32 v[8:9], v8
	v_mul_f64 v[8:9], v[8:9], s[0:1]
	v_cvt_f32_f64_e32 v8, v[8:9]
	v_mul_f32_e32 v9, v13, v14
	v_fma_f32 v9, v12, v15, -v9
	v_cvt_f64_f32_e32 v[12:13], v9
	v_mul_f64 v[12:13], v[12:13], s[0:1]
	v_add_u32_e32 v11, 0x2800, v228
	v_cvt_f32_f64_e32 v9, v[12:13]
	ds_read2_b64 v[12:15], v11 offset0:106 offset1:169
	v_mad_u64_u32 v[4:5], s[6:7], s4, v2, v[4:5]
	v_accvgpr_read_b32 v16, a50
	v_add_u32_e32 v5, s2, v5
	v_accvgpr_read_b32 v17, a51
	global_store_dwordx2 v[4:5], v[8:9], off
	s_waitcnt lgkmcnt(0)
	v_mul_f32_e32 v8, v17, v13
	v_fmac_f32_e32 v8, v16, v12
	v_cvt_f64_f32_e32 v[8:9], v8
	v_mul_f64 v[8:9], v[8:9], s[0:1]
	v_cvt_f32_f64_e32 v8, v[8:9]
	v_mul_f32_e32 v9, v17, v12
	v_fma_f32 v9, v16, v13, -v9
	v_cvt_f64_f32_e32 v[12:13], v9
	v_accvgpr_read_b32 v16, a48
	v_mul_f64 v[12:13], v[12:13], s[0:1]
	v_accvgpr_read_b32 v17, a49
	v_cvt_f32_f64_e32 v9, v[12:13]
	v_mad_u64_u32 v[12:13], s[6:7], s4, v2, v[4:5]
	v_mul_f32_e32 v4, v17, v7
	v_fmac_f32_e32 v4, v16, v6
	v_cvt_f64_f32_e32 v[4:5], v4
	v_add_u32_e32 v13, s2, v13
	v_mul_f64 v[4:5], v[4:5], s[0:1]
	global_store_dwordx2 v[12:13], v[8:9], off
	v_cvt_f32_f64_e32 v8, v[4:5]
	v_mul_f32_e32 v4, v17, v6
	v_fma_f32 v4, v16, v7, -v4
	v_cvt_f64_f32_e32 v[4:5], v4
	v_mul_f64 v[4:5], v[4:5], s[0:1]
	v_cvt_f32_f64_e32 v9, v[4:5]
	v_add_u32_e32 v4, 0x1800, v228
	ds_read2_b64 v[4:7], v4 offset0:114 offset1:177
	v_mad_u64_u32 v[12:13], s[6:7], s4, v3, v[12:13]
	v_accvgpr_read_b32 v16, a46
	v_add_u32_e32 v13, s3, v13
	v_accvgpr_read_b32 v17, a47
	global_store_dwordx2 v[12:13], v[8:9], off
	s_waitcnt lgkmcnt(0)
	v_mul_f32_e32 v8, v17, v5
	v_fmac_f32_e32 v8, v16, v4
	v_mul_f32_e32 v4, v17, v4
	v_fma_f32 v4, v16, v5, -v4
	v_cvt_f64_f32_e32 v[8:9], v8
	v_cvt_f64_f32_e32 v[4:5], v4
	v_mul_f64 v[8:9], v[8:9], s[0:1]
	v_mul_f64 v[4:5], v[4:5], s[0:1]
	v_cvt_f32_f64_e32 v8, v[8:9]
	v_cvt_f32_f64_e32 v9, v[4:5]
	v_mad_u64_u32 v[4:5], s[6:7], s4, v2, v[12:13]
	v_accvgpr_read_b32 v16, a44
	v_add_u32_e32 v5, s2, v5
	v_accvgpr_read_b32 v17, a45
	global_store_dwordx2 v[4:5], v[8:9], off
	v_mul_f32_e32 v8, v17, v15
	v_fmac_f32_e32 v8, v16, v14
	v_cvt_f64_f32_e32 v[8:9], v8
	v_mul_f64 v[8:9], v[8:9], s[0:1]
	v_cvt_f32_f64_e32 v12, v[8:9]
	v_mul_f32_e32 v8, v17, v14
	v_fma_f32 v8, v16, v15, -v8
	v_cvt_f64_f32_e32 v[8:9], v8
	v_mul_f64 v[8:9], v[8:9], s[0:1]
	v_cvt_f32_f64_e32 v13, v[8:9]
	ds_read2_b64 v[8:11], v10 offset0:122 offset1:185
	v_mad_u64_u32 v[4:5], s[6:7], s4, v2, v[4:5]
	v_accvgpr_read_b32 v14, a42
	v_add_u32_e32 v5, s2, v5
	v_accvgpr_read_b32 v15, a43
	global_store_dwordx2 v[4:5], v[12:13], off
	s_waitcnt lgkmcnt(0)
	v_mul_f32_e32 v12, v15, v9
	v_fmac_f32_e32 v12, v14, v8
	v_mul_f32_e32 v8, v15, v8
	v_fma_f32 v8, v14, v9, -v8
	v_cvt_f64_f32_e32 v[12:13], v12
	v_cvt_f64_f32_e32 v[8:9], v8
	v_accvgpr_read_b32 v14, a40
	v_mul_f64 v[12:13], v[12:13], s[0:1]
	v_mul_f64 v[8:9], v[8:9], s[0:1]
	v_accvgpr_read_b32 v15, a41
	v_cvt_f32_f64_e32 v12, v[12:13]
	v_cvt_f32_f64_e32 v13, v[8:9]
	v_mad_u64_u32 v[8:9], s[6:7], s4, v3, v[4:5]
	v_mul_f32_e32 v4, v15, v7
	v_fmac_f32_e32 v4, v14, v6
	v_cvt_f64_f32_e32 v[4:5], v4
	v_add_u32_e32 v9, s3, v9
	v_mul_f64 v[4:5], v[4:5], s[0:1]
	global_store_dwordx2 v[8:9], v[12:13], off
	v_cvt_f32_f64_e32 v12, v[4:5]
	v_mul_f32_e32 v4, v15, v6
	v_fma_f32 v4, v14, v7, -v4
	v_cvt_f64_f32_e32 v[4:5], v4
	v_mul_f64 v[4:5], v[4:5], s[0:1]
	v_cvt_f32_f64_e32 v13, v[4:5]
	v_add_u32_e32 v4, 0x2c00, v228
	ds_read2_b64 v[4:7], v4 offset0:104 offset1:167
	v_mad_u64_u32 v[8:9], s[6:7], s4, v2, v[8:9]
	v_accvgpr_read_b32 v14, a36
	v_add_u32_e32 v9, s2, v9
	v_accvgpr_read_b32 v15, a37
	global_store_dwordx2 v[8:9], v[12:13], off
	s_waitcnt lgkmcnt(0)
	v_mul_f32_e32 v12, v15, v5
	v_fmac_f32_e32 v12, v14, v4
	v_mul_f32_e32 v4, v15, v4
	v_fma_f32 v4, v14, v5, -v4
	v_cvt_f64_f32_e32 v[12:13], v12
	v_cvt_f64_f32_e32 v[4:5], v4
	v_accvgpr_read_b32 v14, a38
	v_mul_f64 v[12:13], v[12:13], s[0:1]
	v_mul_f64 v[4:5], v[4:5], s[0:1]
	v_accvgpr_read_b32 v15, a39
	v_cvt_f32_f64_e32 v12, v[12:13]
	v_cvt_f32_f64_e32 v13, v[4:5]
	v_mad_u64_u32 v[4:5], s[6:7], s4, v2, v[8:9]
	v_mul_f32_e32 v8, v15, v11
	v_fmac_f32_e32 v8, v14, v10
	v_cvt_f64_f32_e32 v[8:9], v8
	v_add_u32_e32 v5, s2, v5
	v_mul_f64 v[8:9], v[8:9], s[0:1]
	global_store_dwordx2 v[4:5], v[12:13], off
	v_cvt_f32_f64_e32 v12, v[8:9]
	v_mul_f32_e32 v8, v15, v10
	v_fma_f32 v8, v14, v11, -v8
	v_cvt_f64_f32_e32 v[8:9], v8
	v_mul_f64 v[8:9], v[8:9], s[0:1]
	v_cvt_f32_f64_e32 v13, v[8:9]
	v_add_u32_e32 v8, 0x1c00, v228
	ds_read2_b64 v[8:11], v8 offset0:112 offset1:175
	v_mad_u64_u32 v[4:5], s[6:7], s4, v3, v[4:5]
	v_accvgpr_read_b32 v14, a34
	v_add_u32_e32 v5, s3, v5
	v_accvgpr_read_b32 v15, a35
	global_store_dwordx2 v[4:5], v[12:13], off
	s_waitcnt lgkmcnt(0)
	v_mul_f32_e32 v12, v15, v9
	v_fmac_f32_e32 v12, v14, v8
	v_mul_f32_e32 v8, v15, v8
	v_fma_f32 v8, v14, v9, -v8
	v_cvt_f64_f32_e32 v[12:13], v12
	v_cvt_f64_f32_e32 v[8:9], v8
	v_mul_f64 v[12:13], v[12:13], s[0:1]
	v_mul_f64 v[8:9], v[8:9], s[0:1]
	v_mad_u64_u32 v[4:5], s[6:7], s4, v2, v[4:5]
	v_cvt_f32_f64_e32 v12, v[12:13]
	v_cvt_f32_f64_e32 v13, v[8:9]
	v_add_u32_e32 v5, s2, v5
	global_store_dwordx2 v[4:5], v[12:13], off
	v_accvgpr_read_b32 v12, a30
	v_accvgpr_read_b32 v13, a31
	v_mul_f32_e32 v8, v13, v7
	v_fmac_f32_e32 v8, v12, v6
	v_mul_f32_e32 v6, v13, v6
	v_fma_f32 v6, v12, v7, -v6
	v_cvt_f64_f32_e32 v[8:9], v8
	v_cvt_f64_f32_e32 v[6:7], v6
	v_mul_f64 v[8:9], v[8:9], s[0:1]
	v_mul_f64 v[6:7], v[6:7], s[0:1]
	v_mad_u64_u32 v[4:5], s[6:7], s4, v2, v[4:5]
	v_cvt_f32_f64_e32 v8, v[8:9]
	v_cvt_f32_f64_e32 v9, v[6:7]
	v_add_u32_e32 v5, s2, v5
	global_store_dwordx2 v[4:5], v[8:9], off
	v_accvgpr_read_b32 v8, a22
	v_accvgpr_read_b32 v9, a23
	v_mul_f32_e32 v6, v9, v1
	v_fmac_f32_e32 v6, v8, v0
	v_mul_f32_e32 v0, v9, v0
	v_fma_f32 v0, v8, v1, -v0
	v_cvt_f64_f32_e32 v[6:7], v6
	v_cvt_f64_f32_e32 v[0:1], v0
	v_mul_f64 v[6:7], v[6:7], s[0:1]
	v_mul_f64 v[0:1], v[0:1], s[0:1]
	v_cvt_f32_f64_e32 v6, v[6:7]
	v_cvt_f32_f64_e32 v7, v[0:1]
	v_mad_u64_u32 v[0:1], s[6:7], s4, v3, v[4:5]
	v_add_u32_e32 v1, s3, v1
	global_store_dwordx2 v[0:1], v[6:7], off
	v_accvgpr_read_b32 v7, a1
	v_accvgpr_read_b32 v6, a0
	v_mul_f32_e32 v3, v7, v11
	v_fmac_f32_e32 v3, v6, v10
	v_cvt_f64_f32_e32 v[4:5], v3
	v_mul_f32_e32 v3, v7, v10
	v_fma_f32 v3, v6, v11, -v3
	v_cvt_f64_f32_e32 v[6:7], v3
	v_mul_f64 v[4:5], v[4:5], s[0:1]
	v_mul_f64 v[6:7], v[6:7], s[0:1]
	v_cvt_f32_f64_e32 v4, v[4:5]
	v_cvt_f32_f64_e32 v5, v[6:7]
	ds_read_b64 v[6:7], v228 offset:13104
	v_accvgpr_read_b32 v8, a14
	v_accvgpr_read_b32 v9, a15
	v_mad_u64_u32 v[0:1], s[6:7], s4, v2, v[0:1]
	s_waitcnt lgkmcnt(0)
	v_mul_f32_e32 v3, v9, v7
	v_add_u32_e32 v1, s2, v1
	v_fmac_f32_e32 v3, v8, v6
	global_store_dwordx2 v[0:1], v[4:5], off
	v_cvt_f64_f32_e32 v[4:5], v3
	v_mul_f32_e32 v3, v9, v6
	v_fma_f32 v3, v8, v7, -v3
	v_cvt_f64_f32_e32 v[6:7], v3
	v_mul_f64 v[4:5], v[4:5], s[0:1]
	v_mul_f64 v[6:7], v[6:7], s[0:1]
	v_mad_u64_u32 v[0:1], s[0:1], s4, v2, v[0:1]
	v_cvt_f32_f64_e32 v4, v[4:5]
	v_cvt_f32_f64_e32 v5, v[6:7]
	v_add_u32_e32 v1, s2, v1
	global_store_dwordx2 v[0:1], v[4:5], off
.LBB0_12:
	s_endpgm
	.section	.rodata,"a",@progbits
	.p2align	6, 0x0
	.amdhsa_kernel bluestein_single_fwd_len1701_dim1_sp_op_CI_CI
		.amdhsa_group_segment_fixed_size 13608
		.amdhsa_private_segment_fixed_size 80
		.amdhsa_kernarg_size 104
		.amdhsa_user_sgpr_count 2
		.amdhsa_user_sgpr_dispatch_ptr 0
		.amdhsa_user_sgpr_queue_ptr 0
		.amdhsa_user_sgpr_kernarg_segment_ptr 1
		.amdhsa_user_sgpr_dispatch_id 0
		.amdhsa_user_sgpr_kernarg_preload_length 0
		.amdhsa_user_sgpr_kernarg_preload_offset 0
		.amdhsa_user_sgpr_private_segment_size 0
		.amdhsa_uses_dynamic_stack 0
		.amdhsa_enable_private_segment 1
		.amdhsa_system_sgpr_workgroup_id_x 1
		.amdhsa_system_sgpr_workgroup_id_y 0
		.amdhsa_system_sgpr_workgroup_id_z 0
		.amdhsa_system_sgpr_workgroup_info 0
		.amdhsa_system_vgpr_workitem_id 0
		.amdhsa_next_free_vgpr 512
		.amdhsa_next_free_sgpr 26
		.amdhsa_accum_offset 256
		.amdhsa_reserve_vcc 1
		.amdhsa_float_round_mode_32 0
		.amdhsa_float_round_mode_16_64 0
		.amdhsa_float_denorm_mode_32 3
		.amdhsa_float_denorm_mode_16_64 3
		.amdhsa_dx10_clamp 1
		.amdhsa_ieee_mode 1
		.amdhsa_fp16_overflow 0
		.amdhsa_tg_split 0
		.amdhsa_exception_fp_ieee_invalid_op 0
		.amdhsa_exception_fp_denorm_src 0
		.amdhsa_exception_fp_ieee_div_zero 0
		.amdhsa_exception_fp_ieee_overflow 0
		.amdhsa_exception_fp_ieee_underflow 0
		.amdhsa_exception_fp_ieee_inexact 0
		.amdhsa_exception_int_div_zero 0
	.end_amdhsa_kernel
	.text
.Lfunc_end0:
	.size	bluestein_single_fwd_len1701_dim1_sp_op_CI_CI, .Lfunc_end0-bluestein_single_fwd_len1701_dim1_sp_op_CI_CI
                                        ; -- End function
	.section	.AMDGPU.csdata,"",@progbits
; Kernel info:
; codeLenInByte = 34140
; NumSgprs: 32
; NumVgprs: 256
; NumAgprs: 256
; TotalNumVgprs: 512
; ScratchSize: 80
; MemoryBound: 0
; FloatMode: 240
; IeeeMode: 1
; LDSByteSize: 13608 bytes/workgroup (compile time only)
; SGPRBlocks: 3
; VGPRBlocks: 63
; NumSGPRsForWavesPerEU: 32
; NumVGPRsForWavesPerEU: 512
; AccumOffset: 256
; Occupancy: 1
; WaveLimiterHint : 1
; COMPUTE_PGM_RSRC2:SCRATCH_EN: 1
; COMPUTE_PGM_RSRC2:USER_SGPR: 2
; COMPUTE_PGM_RSRC2:TRAP_HANDLER: 0
; COMPUTE_PGM_RSRC2:TGID_X_EN: 1
; COMPUTE_PGM_RSRC2:TGID_Y_EN: 0
; COMPUTE_PGM_RSRC2:TGID_Z_EN: 0
; COMPUTE_PGM_RSRC2:TIDIG_COMP_CNT: 0
; COMPUTE_PGM_RSRC3_GFX90A:ACCUM_OFFSET: 63
; COMPUTE_PGM_RSRC3_GFX90A:TG_SPLIT: 0
	.text
	.p2alignl 6, 3212836864
	.fill 256, 4, 3212836864
	.type	__hip_cuid_35509bee14dde86f,@object ; @__hip_cuid_35509bee14dde86f
	.section	.bss,"aw",@nobits
	.globl	__hip_cuid_35509bee14dde86f
__hip_cuid_35509bee14dde86f:
	.byte	0                               ; 0x0
	.size	__hip_cuid_35509bee14dde86f, 1

	.ident	"AMD clang version 19.0.0git (https://github.com/RadeonOpenCompute/llvm-project roc-6.4.0 25133 c7fe45cf4b819c5991fe208aaa96edf142730f1d)"
	.section	".note.GNU-stack","",@progbits
	.addrsig
	.addrsig_sym __hip_cuid_35509bee14dde86f
	.amdgpu_metadata
---
amdhsa.kernels:
  - .agpr_count:     256
    .args:
      - .actual_access:  read_only
        .address_space:  global
        .offset:         0
        .size:           8
        .value_kind:     global_buffer
      - .actual_access:  read_only
        .address_space:  global
        .offset:         8
        .size:           8
        .value_kind:     global_buffer
      - .actual_access:  read_only
        .address_space:  global
        .offset:         16
        .size:           8
        .value_kind:     global_buffer
      - .actual_access:  read_only
        .address_space:  global
        .offset:         24
        .size:           8
        .value_kind:     global_buffer
      - .actual_access:  read_only
        .address_space:  global
        .offset:         32
        .size:           8
        .value_kind:     global_buffer
      - .offset:         40
        .size:           8
        .value_kind:     by_value
      - .address_space:  global
        .offset:         48
        .size:           8
        .value_kind:     global_buffer
      - .address_space:  global
        .offset:         56
        .size:           8
        .value_kind:     global_buffer
      - .address_space:  global
        .offset:         64
        .size:           8
        .value_kind:     global_buffer
      - .address_space:  global
        .offset:         72
        .size:           8
        .value_kind:     global_buffer
      - .offset:         80
        .size:           4
        .value_kind:     by_value
      - .address_space:  global
        .offset:         88
        .size:           8
        .value_kind:     global_buffer
      - .address_space:  global
        .offset:         96
        .size:           8
        .value_kind:     global_buffer
    .group_segment_fixed_size: 13608
    .kernarg_segment_align: 8
    .kernarg_segment_size: 104
    .language:       OpenCL C
    .language_version:
      - 2
      - 0
    .max_flat_workgroup_size: 63
    .name:           bluestein_single_fwd_len1701_dim1_sp_op_CI_CI
    .private_segment_fixed_size: 80
    .sgpr_count:     32
    .sgpr_spill_count: 0
    .symbol:         bluestein_single_fwd_len1701_dim1_sp_op_CI_CI.kd
    .uniform_work_group_size: 1
    .uses_dynamic_stack: false
    .vgpr_count:     512
    .vgpr_spill_count: 19
    .wavefront_size: 64
amdhsa.target:   amdgcn-amd-amdhsa--gfx950
amdhsa.version:
  - 1
  - 2
...

	.end_amdgpu_metadata
